;; amdgpu-corpus repo=ROCm/rocFFT kind=compiled arch=gfx1201 opt=O3
	.text
	.amdgcn_target "amdgcn-amd-amdhsa--gfx1201"
	.amdhsa_code_object_version 6
	.protected	fft_rtc_back_len240_factors_2_2_10_3_2_wgs_180_tpt_20_dim3_sp_ip_CI_sbcc_twdbase8_2step_dirReg_intrinsicReadWrite ; -- Begin function fft_rtc_back_len240_factors_2_2_10_3_2_wgs_180_tpt_20_dim3_sp_ip_CI_sbcc_twdbase8_2step_dirReg_intrinsicReadWrite
	.globl	fft_rtc_back_len240_factors_2_2_10_3_2_wgs_180_tpt_20_dim3_sp_ip_CI_sbcc_twdbase8_2step_dirReg_intrinsicReadWrite
	.p2align	8
	.type	fft_rtc_back_len240_factors_2_2_10_3_2_wgs_180_tpt_20_dim3_sp_ip_CI_sbcc_twdbase8_2step_dirReg_intrinsicReadWrite,@function
fft_rtc_back_len240_factors_2_2_10_3_2_wgs_180_tpt_20_dim3_sp_ip_CI_sbcc_twdbase8_2step_dirReg_intrinsicReadWrite: ; @fft_rtc_back_len240_factors_2_2_10_3_2_wgs_180_tpt_20_dim3_sp_ip_CI_sbcc_twdbase8_2step_dirReg_intrinsicReadWrite
; %bb.0:
	s_load_b128 s[4:7], s[0:1], 0x10
	s_mov_b32 s11, 0
	s_mov_b32 s2, 0x71c4fc00
	s_movk_i32 s3, 0x7c
	s_mov_b32 s10, s11
	s_delay_alu instid0(SALU_CYCLE_1) | instskip(NEXT) | instid1(SALU_CYCLE_1)
	s_add_nc_u64 s[2:3], s[10:11], s[2:3]
	s_add_co_i32 s3, s3, 0x1c71c6a0
	s_delay_alu instid0(SALU_CYCLE_1) | instskip(NEXT) | instid1(SALU_CYCLE_1)
	s_mul_u64 s[12:13], s[2:3], -9
	s_mul_hi_u32 s15, s2, s13
	s_mul_i32 s14, s2, s13
	s_mul_hi_u32 s10, s2, s12
	s_mul_i32 s17, s3, s12
	s_add_nc_u64 s[14:15], s[10:11], s[14:15]
	s_mul_hi_u32 s16, s3, s12
	s_mul_hi_u32 s18, s3, s13
	s_add_co_u32 s10, s14, s17
	s_wait_kmcnt 0x0
	s_load_b64 s[8:9], s[4:5], 0x8
	s_add_co_ci_u32 s10, s15, s16
	s_mul_i32 s12, s3, s13
	s_add_co_ci_u32 s13, s18, 0
	s_delay_alu instid0(SALU_CYCLE_1) | instskip(NEXT) | instid1(SALU_CYCLE_1)
	s_add_nc_u64 s[12:13], s[10:11], s[12:13]
	v_add_co_u32 v1, s2, s2, s12
	s_delay_alu instid0(VALU_DEP_1) | instskip(SKIP_1) | instid1(VALU_DEP_1)
	s_cmp_lg_u32 s2, 0
	s_add_co_ci_u32 s14, s3, s13
	v_readfirstlane_b32 s15, v1
	s_wait_kmcnt 0x0
	s_add_nc_u64 s[2:3], s[8:9], -1
	s_wait_alu 0xfffe
	s_mul_hi_u32 s13, s2, s14
	s_mul_i32 s12, s2, s14
	s_mul_hi_u32 s10, s2, s15
	s_mul_hi_u32 s17, s3, s15
	s_mul_i32 s15, s3, s15
	s_wait_alu 0xfffe
	s_add_nc_u64 s[12:13], s[10:11], s[12:13]
	s_mul_hi_u32 s16, s3, s14
	s_wait_alu 0xfffe
	s_add_co_u32 s10, s12, s15
	s_add_co_ci_u32 s10, s13, s17
	s_mul_i32 s14, s3, s14
	s_add_co_ci_u32 s15, s16, 0
	s_delay_alu instid0(SALU_CYCLE_1) | instskip(SKIP_2) | instid1(SALU_CYCLE_1)
	s_add_nc_u64 s[12:13], s[10:11], s[14:15]
	s_wait_alu 0xfffe
	s_mul_u64 s[14:15], s[12:13], 9
	v_sub_co_u32 v1, s2, s2, s14
	s_delay_alu instid0(VALU_DEP_1) | instskip(SKIP_1) | instid1(VALU_DEP_1)
	s_cmp_lg_u32 s2, 0
	s_sub_co_ci_u32 s16, s3, s15
	v_sub_co_u32 v2, s10, v1, 9
	s_delay_alu instid0(VALU_DEP_1) | instskip(SKIP_2) | instid1(VALU_DEP_1)
	s_cmp_lg_u32 s10, 0
	s_add_nc_u64 s[14:15], s[12:13], 2
	s_sub_co_ci_u32 s10, s16, 0
	v_readfirstlane_b32 s2, v2
	s_delay_alu instid0(VALU_DEP_1)
	s_cmp_gt_u32 s2, 8
	s_add_nc_u64 s[2:3], s[12:13], 1
	s_cselect_b32 s17, -1, 0
	s_cmp_eq_u32 s10, 0
	s_cselect_b32 s10, s17, -1
	v_readfirstlane_b32 s17, v1
	s_cmp_lg_u32 s10, 0
	s_wait_alu 0xfffe
	s_cselect_b32 s2, s14, s2
	s_cselect_b32 s3, s15, s3
	s_cmp_gt_u32 s17, 8
	s_cselect_b32 s10, -1, 0
	s_cmp_eq_u32 s16, 0
	s_mov_b64 s[16:17], 0
	s_cselect_b32 s10, s10, -1
	s_delay_alu instid0(SALU_CYCLE_1)
	s_cmp_lg_u32 s10, 0
	s_mov_b32 s10, ttmp9
	s_wait_alu 0xfffe
	s_cselect_b32 s3, s3, s13
	s_cselect_b32 s2, s2, s12
	s_wait_alu 0xfffe
	s_add_nc_u64 s[12:13], s[2:3], 1
	s_wait_alu 0xfffe
	v_cmp_lt_u64_e64 s2, s[10:11], s[12:13]
	s_delay_alu instid0(VALU_DEP_1)
	s_and_b32 vcc_lo, exec_lo, s2
	s_cbranch_vccnz .LBB0_2
; %bb.1:
	v_cvt_f32_u32_e32 v1, s12
	s_sub_co_i32 s3, 0, s12
	s_mov_b32 s17, s11
	s_delay_alu instid0(VALU_DEP_1) | instskip(NEXT) | instid1(TRANS32_DEP_1)
	v_rcp_iflag_f32_e32 v1, v1
	v_mul_f32_e32 v1, 0x4f7ffffe, v1
	s_delay_alu instid0(VALU_DEP_1) | instskip(NEXT) | instid1(VALU_DEP_1)
	v_cvt_u32_f32_e32 v1, v1
	v_readfirstlane_b32 s2, v1
	s_wait_alu 0xfffe
	s_delay_alu instid0(VALU_DEP_1)
	s_mul_i32 s3, s3, s2
	s_wait_alu 0xfffe
	s_mul_hi_u32 s3, s2, s3
	s_wait_alu 0xfffe
	s_add_co_i32 s2, s2, s3
	s_wait_alu 0xfffe
	s_mul_hi_u32 s2, s10, s2
	s_wait_alu 0xfffe
	s_mul_i32 s3, s2, s12
	s_add_co_i32 s14, s2, 1
	s_wait_alu 0xfffe
	s_sub_co_i32 s3, s10, s3
	s_wait_alu 0xfffe
	s_sub_co_i32 s15, s3, s12
	s_cmp_ge_u32 s3, s12
	s_cselect_b32 s2, s14, s2
	s_wait_alu 0xfffe
	s_cselect_b32 s3, s15, s3
	s_add_co_i32 s14, s2, 1
	s_wait_alu 0xfffe
	s_cmp_ge_u32 s3, s12
	s_cselect_b32 s16, s14, s2
.LBB0_2:
	s_load_b64 s[22:23], s[4:5], 0x10
	s_load_b64 s[14:15], s[6:7], 0x8
	s_mov_b64 s[18:19], s[16:17]
	s_wait_kmcnt 0x0
	v_cmp_lt_u64_e64 s2, s[16:17], s[22:23]
	s_delay_alu instid0(VALU_DEP_1)
	s_and_b32 vcc_lo, exec_lo, s2
	s_cbranch_vccnz .LBB0_4
; %bb.3:
	v_cvt_f32_u32_e32 v1, s22
	s_sub_co_i32 s3, 0, s22
	s_mov_b32 s19, 0
	s_delay_alu instid0(VALU_DEP_1) | instskip(NEXT) | instid1(TRANS32_DEP_1)
	v_rcp_iflag_f32_e32 v1, v1
	v_mul_f32_e32 v1, 0x4f7ffffe, v1
	s_delay_alu instid0(VALU_DEP_1) | instskip(NEXT) | instid1(VALU_DEP_1)
	v_cvt_u32_f32_e32 v1, v1
	v_readfirstlane_b32 s2, v1
	s_wait_alu 0xfffe
	s_delay_alu instid0(VALU_DEP_1)
	s_mul_i32 s3, s3, s2
	s_wait_alu 0xfffe
	s_mul_hi_u32 s3, s2, s3
	s_wait_alu 0xfffe
	s_add_co_i32 s2, s2, s3
	s_wait_alu 0xfffe
	s_mul_hi_u32 s2, s16, s2
	s_wait_alu 0xfffe
	s_mul_i32 s2, s2, s22
	s_wait_alu 0xfffe
	s_sub_co_i32 s2, s16, s2
	s_wait_alu 0xfffe
	s_sub_co_i32 s3, s2, s22
	s_cmp_ge_u32 s2, s22
	s_wait_alu 0xfffe
	s_cselect_b32 s2, s3, s2
	s_wait_alu 0xfffe
	s_sub_co_i32 s3, s2, s22
	s_cmp_ge_u32 s2, s22
	s_wait_alu 0xfffe
	s_cselect_b32 s18, s3, s2
.LBB0_4:
	s_load_b64 s[2:3], s[0:1], 0x50
	s_clause 0x1
	s_load_b64 s[4:5], s[6:7], 0x0
	s_load_b64 s[20:21], s[6:7], 0x10
	s_mul_u64 s[24:25], s[22:23], s[12:13]
	s_mov_b64 s[22:23], 0
	s_wait_kmcnt 0x0
	v_cmp_lt_u64_e64 s5, s[10:11], s[24:25]
	s_delay_alu instid0(VALU_DEP_1)
	s_and_b32 vcc_lo, exec_lo, s5
	s_cbranch_vccnz .LBB0_6
; %bb.5:
	v_cvt_f32_u32_e32 v1, s24
	s_sub_co_i32 s22, 0, s24
	s_delay_alu instid0(VALU_DEP_1) | instskip(NEXT) | instid1(TRANS32_DEP_1)
	v_rcp_iflag_f32_e32 v1, v1
	v_mul_f32_e32 v1, 0x4f7ffffe, v1
	s_delay_alu instid0(VALU_DEP_1) | instskip(NEXT) | instid1(VALU_DEP_1)
	v_cvt_u32_f32_e32 v1, v1
	v_readfirstlane_b32 s5, v1
	s_wait_alu 0xfffe
	s_delay_alu instid0(VALU_DEP_1) | instskip(SKIP_4) | instid1(SALU_CYCLE_1)
	s_mul_i32 s22, s22, s5
	s_wait_alu 0xfffe
	s_mul_hi_u32 s22, s5, s22
	s_wait_alu 0xfffe
	s_add_co_i32 s5, s5, s22
	s_mul_hi_u32 s5, s10, s5
	s_delay_alu instid0(SALU_CYCLE_1)
	s_mul_i32 s22, s5, s24
	s_add_co_i32 s23, s5, 1
	s_wait_alu 0xfffe
	s_sub_co_i32 s22, s10, s22
	s_wait_alu 0xfffe
	s_sub_co_i32 s25, s22, s24
	s_cmp_ge_u32 s22, s24
	s_cselect_b32 s5, s23, s5
	s_wait_alu 0xfffe
	s_cselect_b32 s22, s25, s22
	s_add_co_i32 s25, s5, 1
	s_wait_alu 0xfffe
	s_cmp_ge_u32 s22, s24
	s_mov_b32 s23, 0
	s_cselect_b32 s22, s25, s5
.LBB0_6:
	v_mul_u32_u24_e32 v1, 0x1c72, v0
	s_load_b64 s[6:7], s[6:7], 0x18
	s_mul_u64 s[12:13], s[16:17], s[12:13]
	v_mov_b32_e32 v4, 0
	s_wait_alu 0xfffe
	s_sub_nc_u64 s[10:11], s[10:11], s[12:13]
	v_lshrrev_b32_e32 v62, 16, v1
	s_wait_alu 0xfffe
	s_mul_u64 s[10:11], s[10:11], 9
	s_mul_u64 s[12:13], s[20:21], s[18:19]
	s_wait_alu 0xfffe
	s_add_nc_u64 s[18:19], s[10:11], 9
	s_mul_u64 s[16:17], s[14:15], s[10:11]
	v_mul_lo_u16 v1, v62, 9
	s_wait_alu 0xfffe
	s_add_nc_u64 s[12:13], s[12:13], s[16:17]
	s_delay_alu instid0(VALU_DEP_1) | instskip(NEXT) | instid1(VALU_DEP_1)
	v_sub_nc_u16 v1, v0, v1
	v_and_b32_e32 v25, 0xffff, v1
	s_wait_kmcnt 0x0
	s_mul_u64 s[6:7], s[6:7], s[22:23]
	s_wait_alu 0xfffe
	s_add_nc_u64 s[6:7], s[6:7], s[12:13]
	v_mad_co_u64_u32 v[53:54], null, s14, v25, 0
	s_delay_alu instid0(VALU_DEP_1) | instskip(SKIP_1) | instid1(VALU_DEP_1)
	v_mov_b32_e32 v1, v54
	v_add_co_u32 v54, s5, s10, v25
	v_add_co_ci_u32_e64 v55, null, s11, 0, s5
	v_cmp_le_u64_e64 s5, s[18:19], s[8:9]
	s_delay_alu instid0(VALU_DEP_4) | instskip(SKIP_1) | instid1(VALU_DEP_4)
	v_mad_co_u64_u32 v[1:2], null, s15, v25, v[1:2]
	v_mov_b32_e32 v2, 0
	v_cmp_gt_u64_e32 vcc_lo, s[8:9], v[54:55]
	v_mov_b32_e32 v1, 0
	s_or_b32 s5, s5, vcc_lo
	s_wait_alu 0xfffe
	s_and_saveexec_b32 s7, s5
	s_cbranch_execz .LBB0_8
; %bb.7:
	v_mul_lo_u32 v1, s4, v62
	v_mov_b32_e32 v2, 0
	s_delay_alu instid0(VALU_DEP_2) | instskip(NEXT) | instid1(VALU_DEP_1)
	v_add3_u32 v1, s6, v53, v1
	v_lshlrev_b64_e32 v[1:2], 3, v[1:2]
	s_delay_alu instid0(VALU_DEP_1) | instskip(NEXT) | instid1(VALU_DEP_2)
	v_add_co_u32 v1, vcc_lo, s2, v1
	v_add_co_ci_u32_e32 v2, vcc_lo, s3, v2, vcc_lo
	global_load_b64 v[1:2], v[1:2], off
.LBB0_8:
	s_or_b32 exec_lo, exec_lo, s7
	v_add_nc_u32_e32 v65, 0x78, v62
	v_mov_b32_e32 v3, 0
	s_and_saveexec_b32 s7, s5
	s_cbranch_execz .LBB0_10
; %bb.9:
	s_delay_alu instid0(VALU_DEP_2) | instskip(SKIP_1) | instid1(VALU_DEP_2)
	v_mul_lo_u32 v3, s4, v65
	v_mov_b32_e32 v4, 0
	v_add3_u32 v3, s6, v53, v3
	s_delay_alu instid0(VALU_DEP_1) | instskip(NEXT) | instid1(VALU_DEP_1)
	v_lshlrev_b64_e32 v[3:4], 3, v[3:4]
	v_add_co_u32 v3, vcc_lo, s2, v3
	s_wait_alu 0xfffd
	s_delay_alu instid0(VALU_DEP_2)
	v_add_co_ci_u32_e32 v4, vcc_lo, s3, v4, vcc_lo
	global_load_b64 v[3:4], v[3:4], off
.LBB0_10:
	s_wait_alu 0xfffe
	s_or_b32 exec_lo, exec_lo, s7
	v_dual_mov_b32 v8, 0 :: v_dual_add_nc_u32 v61, 20, v62
	v_dual_mov_b32 v6, 0 :: v_dual_mov_b32 v5, 0
	s_and_saveexec_b32 s7, s5
	s_cbranch_execz .LBB0_12
; %bb.11:
	s_delay_alu instid0(VALU_DEP_2) | instskip(SKIP_1) | instid1(VALU_DEP_2)
	v_mul_lo_u32 v5, s4, v61
	v_mov_b32_e32 v6, 0
	v_add3_u32 v5, s6, v53, v5
	s_delay_alu instid0(VALU_DEP_1) | instskip(NEXT) | instid1(VALU_DEP_1)
	v_lshlrev_b64_e32 v[5:6], 3, v[5:6]
	v_add_co_u32 v5, vcc_lo, s2, v5
	s_wait_alu 0xfffd
	s_delay_alu instid0(VALU_DEP_2)
	v_add_co_ci_u32_e32 v6, vcc_lo, s3, v6, vcc_lo
	global_load_b64 v[5:6], v[5:6], off
.LBB0_12:
	s_wait_alu 0xfffe
	s_or_b32 exec_lo, exec_lo, s7
	v_mov_b32_e32 v7, 0
	s_and_saveexec_b32 s7, s5
	s_cbranch_execz .LBB0_14
; %bb.13:
	v_dual_mov_b32 v8, 0 :: v_dual_add_nc_u32 v7, 0x8c, v62
	s_delay_alu instid0(VALU_DEP_1) | instskip(NEXT) | instid1(VALU_DEP_1)
	v_mul_lo_u32 v7, s4, v7
	v_add3_u32 v7, s6, v53, v7
	s_delay_alu instid0(VALU_DEP_1) | instskip(NEXT) | instid1(VALU_DEP_1)
	v_lshlrev_b64_e32 v[7:8], 3, v[7:8]
	v_add_co_u32 v7, vcc_lo, s2, v7
	s_wait_alu 0xfffd
	s_delay_alu instid0(VALU_DEP_2)
	v_add_co_ci_u32_e32 v8, vcc_lo, s3, v8, vcc_lo
	global_load_b64 v[7:8], v[7:8], off
.LBB0_14:
	s_wait_alu 0xfffe
	s_or_b32 exec_lo, exec_lo, s7
	v_dual_mov_b32 v9, 0 :: v_dual_add_nc_u32 v64, 40, v62
	v_mov_b32_e32 v12, 0
	v_mov_b32_e32 v10, 0
	s_and_saveexec_b32 s7, s5
	s_cbranch_execz .LBB0_16
; %bb.15:
	v_mul_lo_u32 v9, s4, v64
	v_mov_b32_e32 v10, 0
	s_delay_alu instid0(VALU_DEP_2) | instskip(NEXT) | instid1(VALU_DEP_1)
	v_add3_u32 v9, s6, v53, v9
	v_lshlrev_b64_e32 v[9:10], 3, v[9:10]
	s_delay_alu instid0(VALU_DEP_1) | instskip(SKIP_1) | instid1(VALU_DEP_2)
	v_add_co_u32 v9, vcc_lo, s2, v9
	s_wait_alu 0xfffd
	v_add_co_ci_u32_e32 v10, vcc_lo, s3, v10, vcc_lo
	global_load_b64 v[9:10], v[9:10], off
.LBB0_16:
	s_wait_alu 0xfffe
	s_or_b32 exec_lo, exec_lo, s7
	v_mov_b32_e32 v11, 0
	s_and_saveexec_b32 s7, s5
	s_cbranch_execz .LBB0_18
; %bb.17:
	v_or_b32_e32 v11, 0xa0, v62
	v_mov_b32_e32 v12, 0
	s_delay_alu instid0(VALU_DEP_2) | instskip(NEXT) | instid1(VALU_DEP_1)
	v_mul_lo_u32 v11, s4, v11
	v_add3_u32 v11, s6, v53, v11
	s_delay_alu instid0(VALU_DEP_1) | instskip(NEXT) | instid1(VALU_DEP_1)
	v_lshlrev_b64_e32 v[11:12], 3, v[11:12]
	v_add_co_u32 v11, vcc_lo, s2, v11
	s_wait_alu 0xfffd
	s_delay_alu instid0(VALU_DEP_2)
	v_add_co_ci_u32_e32 v12, vcc_lo, s3, v12, vcc_lo
	global_load_b64 v[11:12], v[11:12], off
.LBB0_18:
	s_wait_alu 0xfffe
	s_or_b32 exec_lo, exec_lo, s7
	v_dual_mov_b32 v13, 0 :: v_dual_add_nc_u32 v66, 60, v62
	v_mov_b32_e32 v16, 0
	v_mov_b32_e32 v14, 0
	s_and_saveexec_b32 s7, s5
	s_cbranch_execz .LBB0_20
; %bb.19:
	v_mul_lo_u32 v13, s4, v66
	v_mov_b32_e32 v14, 0
	s_delay_alu instid0(VALU_DEP_2) | instskip(NEXT) | instid1(VALU_DEP_1)
	v_add3_u32 v13, s6, v53, v13
	v_lshlrev_b64_e32 v[13:14], 3, v[13:14]
	s_delay_alu instid0(VALU_DEP_1) | instskip(SKIP_1) | instid1(VALU_DEP_2)
	v_add_co_u32 v13, vcc_lo, s2, v13
	s_wait_alu 0xfffd
	v_add_co_ci_u32_e32 v14, vcc_lo, s3, v14, vcc_lo
	global_load_b64 v[13:14], v[13:14], off
.LBB0_20:
	s_wait_alu 0xfffe
	s_or_b32 exec_lo, exec_lo, s7
	v_mov_b32_e32 v15, 0
	s_and_saveexec_b32 s7, s5
	s_cbranch_execz .LBB0_22
; %bb.21:
	v_dual_mov_b32 v16, 0 :: v_dual_add_nc_u32 v15, 0xb4, v62
	s_delay_alu instid0(VALU_DEP_1) | instskip(NEXT) | instid1(VALU_DEP_1)
	v_mul_lo_u32 v15, s4, v15
	v_add3_u32 v15, s6, v53, v15
	s_delay_alu instid0(VALU_DEP_1) | instskip(NEXT) | instid1(VALU_DEP_1)
	v_lshlrev_b64_e32 v[15:16], 3, v[15:16]
	v_add_co_u32 v15, vcc_lo, s2, v15
	s_wait_alu 0xfffd
	s_delay_alu instid0(VALU_DEP_2)
	v_add_co_ci_u32_e32 v16, vcc_lo, s3, v16, vcc_lo
	global_load_b64 v[15:16], v[15:16], off
.LBB0_22:
	s_wait_alu 0xfffe
	s_or_b32 exec_lo, exec_lo, s7
	v_dual_mov_b32 v20, 0 :: v_dual_add_nc_u32 v67, 0x50, v62
	v_dual_mov_b32 v18, 0 :: v_dual_mov_b32 v17, 0
	s_and_saveexec_b32 s7, s5
	s_cbranch_execz .LBB0_24
; %bb.23:
	s_delay_alu instid0(VALU_DEP_2) | instskip(SKIP_1) | instid1(VALU_DEP_2)
	v_mul_lo_u32 v17, s4, v67
	v_mov_b32_e32 v18, 0
	v_add3_u32 v17, s6, v53, v17
	s_delay_alu instid0(VALU_DEP_1) | instskip(NEXT) | instid1(VALU_DEP_1)
	v_lshlrev_b64_e32 v[17:18], 3, v[17:18]
	v_add_co_u32 v17, vcc_lo, s2, v17
	s_wait_alu 0xfffd
	s_delay_alu instid0(VALU_DEP_2)
	v_add_co_ci_u32_e32 v18, vcc_lo, s3, v18, vcc_lo
	global_load_b64 v[17:18], v[17:18], off
.LBB0_24:
	s_wait_alu 0xfffe
	s_or_b32 exec_lo, exec_lo, s7
	v_mov_b32_e32 v19, 0
	s_and_saveexec_b32 s7, s5
	s_cbranch_execz .LBB0_26
; %bb.25:
	v_dual_mov_b32 v20, 0 :: v_dual_add_nc_u32 v19, 0xc8, v62
	s_delay_alu instid0(VALU_DEP_1) | instskip(NEXT) | instid1(VALU_DEP_1)
	v_mul_lo_u32 v19, s4, v19
	v_add3_u32 v19, s6, v53, v19
	s_delay_alu instid0(VALU_DEP_1) | instskip(NEXT) | instid1(VALU_DEP_1)
	v_lshlrev_b64_e32 v[19:20], 3, v[19:20]
	v_add_co_u32 v19, vcc_lo, s2, v19
	s_wait_alu 0xfffd
	s_delay_alu instid0(VALU_DEP_2)
	v_add_co_ci_u32_e32 v20, vcc_lo, s3, v20, vcc_lo
	global_load_b64 v[19:20], v[19:20], off
.LBB0_26:
	s_wait_alu 0xfffe
	s_or_b32 exec_lo, exec_lo, s7
	s_load_b64 s[8:9], s[0:1], 0x0
	v_dual_mov_b32 v24, 0 :: v_dual_add_nc_u32 v63, 0x64, v62
	v_dual_mov_b32 v22, 0 :: v_dual_mov_b32 v21, 0
	s_and_saveexec_b32 s7, s5
	s_cbranch_execz .LBB0_28
; %bb.27:
	s_delay_alu instid0(VALU_DEP_2) | instskip(SKIP_1) | instid1(VALU_DEP_2)
	v_mul_lo_u32 v21, s4, v63
	v_mov_b32_e32 v22, 0
	v_add3_u32 v21, s6, v53, v21
	s_delay_alu instid0(VALU_DEP_1) | instskip(NEXT) | instid1(VALU_DEP_1)
	v_lshlrev_b64_e32 v[21:22], 3, v[21:22]
	v_add_co_u32 v21, vcc_lo, s2, v21
	s_wait_alu 0xfffd
	s_delay_alu instid0(VALU_DEP_2)
	v_add_co_ci_u32_e32 v22, vcc_lo, s3, v22, vcc_lo
	global_load_b64 v[21:22], v[21:22], off
.LBB0_28:
	s_wait_alu 0xfffe
	s_or_b32 exec_lo, exec_lo, s7
	v_mov_b32_e32 v23, 0
	s_and_saveexec_b32 s7, s5
	s_cbranch_execz .LBB0_30
; %bb.29:
	v_dual_mov_b32 v24, 0 :: v_dual_add_nc_u32 v23, 0xdc, v62
	s_delay_alu instid0(VALU_DEP_1) | instskip(NEXT) | instid1(VALU_DEP_1)
	v_mul_lo_u32 v23, s4, v23
	v_add3_u32 v23, s6, v53, v23
	s_delay_alu instid0(VALU_DEP_1) | instskip(NEXT) | instid1(VALU_DEP_1)
	v_lshlrev_b64_e32 v[23:24], 3, v[23:24]
	v_add_co_u32 v23, vcc_lo, s2, v23
	s_wait_alu 0xfffd
	s_delay_alu instid0(VALU_DEP_2)
	v_add_co_ci_u32_e32 v24, vcc_lo, s3, v24, vcc_lo
	global_load_b64 v[23:24], v[23:24], off
.LBB0_30:
	s_wait_alu 0xfffe
	s_or_b32 exec_lo, exec_lo, s7
	v_mul_u32_u24_e32 v26, 0x90, v62
	s_wait_loadcnt 0x0
	v_dual_sub_f32 v19, v17, v19 :: v_dual_lshlrev_b32 v70, 3, v25
	v_dual_sub_f32 v3, v1, v3 :: v_dual_sub_f32 v4, v2, v4
	v_dual_sub_f32 v7, v5, v7 :: v_dual_sub_f32 v8, v6, v8
	s_delay_alu instid0(VALU_DEP_3) | instskip(SKIP_1) | instid1(VALU_DEP_4)
	v_add3_u32 v25, 0, v26, v70
	v_dual_sub_f32 v11, v9, v11 :: v_dual_sub_f32 v12, v10, v12
	v_fma_f32 v1, v1, 2.0, -v3
	v_fma_f32 v2, v2, 2.0, -v4
	v_dual_sub_f32 v15, v13, v15 :: v_dual_sub_f32 v16, v14, v16
	v_fma_f32 v5, v5, 2.0, -v7
	v_fma_f32 v6, v6, 2.0, -v8
	v_add_nc_u32_e32 v26, 0x800, v25
	v_fma_f32 v9, v9, 2.0, -v11
	v_fma_f32 v10, v10, 2.0, -v12
	;; [unrolled: 1-line block ×4, first 2 shown]
	v_dual_sub_f32 v20, v18, v20 :: v_dual_sub_f32 v23, v21, v23
	v_dual_sub_f32 v24, v22, v24 :: v_dual_add_nc_u32 v27, 0x1000, v25
	ds_store_2addr_b64 v25, v[1:2], v[3:4] offset1:9
	ds_store_2addr_b64 v26, v[5:6], v[7:8] offset0:104 offset1:113
	v_add_nc_u32_e32 v1, 0x2000, v25
	v_and_b32_e32 v4, 1, v62
	v_fma_f32 v17, v17, 2.0, -v19
	v_fma_f32 v18, v18, 2.0, -v20
	ds_store_2addr_b64 v27, v[9:10], v[11:12] offset0:208 offset1:217
	v_add_nc_u32_e32 v2, 0x2c00, v25
	ds_store_b64 v25, v[13:14] offset:8640
	ds_store_2addr_b32 v1, v15, v16 offset0:130 offset1:131
	v_lshlrev_b32_e32 v1, 3, v4
	v_fma_f32 v21, v21, 2.0, -v23
	v_fma_f32 v22, v22, 2.0, -v24
	v_add_nc_u32_e32 v3, 0x3800, v25
	ds_store_2addr_b32 v2, v17, v18 offset0:64 offset1:65
	ds_store_2addr_b32 v2, v19, v20 offset0:82 offset1:83
	;; [unrolled: 1-line block ×4, first 2 shown]
	global_wb scope:SCOPE_SE
	s_wait_dscnt 0x0
	s_wait_kmcnt 0x0
	s_barrier_signal -1
	s_barrier_wait -1
	global_inv scope:SCOPE_SE
	global_load_b64 v[1:2], v1, s[8:9]
	v_mul_u32_u24_e32 v3, 9, v62
	v_mul_u32_u24_e32 v5, 0x48, v61
	v_lshlrev_b32_e32 v6, 1, v62
	v_lshlrev_b32_e32 v7, 1, v61
	;; [unrolled: 1-line block ×7, first 2 shown]
	v_add3_u32 v68, 0, v5, v70
	v_and_or_b32 v5, v6, 60, v4
	v_and_or_b32 v6, 0x7c, v7, v4
	;; [unrolled: 1-line block ×6, first 2 shown]
	v_add3_u32 v69, 0, v3, v70
	v_add_nc_u32_e32 v10, 0xa00, v68
	v_mul_u32_u24_e32 v19, 0x48, v5
	v_mul_u32_u24_e32 v20, 0x48, v6
	;; [unrolled: 1-line block ×3, first 2 shown]
	ds_load_2addr_b64 v[3:6], v68 offset1:180
	v_add_nc_u32_e32 v11, 0x2000, v69
	v_add_nc_u32_e32 v15, 0x2c00, v69
	v_mul_u32_u24_e32 v21, 0x48, v7
	v_mul_u32_u24_e32 v27, 0x48, v8
	;; [unrolled: 1-line block ×3, first 2 shown]
	ds_load_2addr_b64 v[7:10], v10 offset0:40 offset1:220
	ds_load_2addr_b64 v[11:14], v11 offset0:56 offset1:236
	ds_load_b64 v[23:24], v69
	ds_load_b32 v30, v68 offset:5760
	ds_load_b32 v31, v68 offset:5764
	ds_load_b64 v[25:26], v68 offset:5760
	ds_load_2addr_b64 v[15:18], v15 offset0:32 offset1:212
	v_add3_u32 v32, 0, v19, v70
	v_add3_u32 v33, 0, v20, v70
	;; [unrolled: 1-line block ×6, first 2 shown]
	v_cmp_gt_u32_e32 vcc_lo, 36, v0
                                        ; implicit-def: $vgpr58
	s_wait_loadcnt_dscnt 0x0
	v_dual_mul_f32 v43, v2, v16 :: v_dual_add_nc_u32 v22, 0x3800, v69
	v_mul_f32_e32 v35, v2, v12
	v_mul_f32_e32 v36, v2, v11
	;; [unrolled: 1-line block ×3, first 2 shown]
	s_delay_alu instid0(VALU_DEP_4)
	v_fmac_f32_e32 v43, v1, v15
	ds_load_2addr_b64 v[19:22], v22 offset0:8 offset1:188
	v_mul_f32_e32 v42, v2, v13
	v_mul_f32_e32 v44, v2, v15
	;; [unrolled: 1-line block ×3, first 2 shown]
	v_dual_mul_f32 v46, v2, v17 :: v_dual_fmac_f32 v35, v1, v11
	v_fma_f32 v12, v1, v12, -v36
	v_fma_f32 v14, v1, v14, -v42
	;; [unrolled: 1-line block ×3, first 2 shown]
	v_fmac_f32_e32 v45, v1, v17
	v_fma_f32 v18, v1, v18, -v46
	v_dual_sub_f32 v11, v23, v35 :: v_dual_add_nc_u32 v40, 0x3600, v69
	v_sub_f32_e32 v12, v24, v12
	v_dual_sub_f32 v14, v4, v14 :: v_dual_sub_f32 v15, v5, v43
	v_dual_sub_f32 v16, v6, v16 :: v_dual_add_nc_u32 v37, 0xd00, v69
	v_dual_sub_f32 v18, v8, v18 :: v_dual_sub_f32 v17, v7, v45
	s_wait_dscnt 0x0
	v_mul_f32_e32 v47, v2, v20
	v_mul_f32_e32 v48, v2, v19
	;; [unrolled: 1-line block ×4, first 2 shown]
	s_delay_alu instid0(VALU_DEP_4) | instskip(NEXT) | instid1(VALU_DEP_4)
	v_dual_fmac_f32 v47, v1, v19 :: v_dual_add_nc_u32 v38, 0x1a00, v69
	v_fma_f32 v20, v1, v20, -v48
	s_delay_alu instid0(VALU_DEP_4) | instskip(NEXT) | instid1(VALU_DEP_4)
	v_fmac_f32_e32 v49, v1, v21
	v_fma_f32 v2, v1, v22, -v2
	v_fmac_f32_e32 v41, v1, v13
	s_delay_alu instid0(VALU_DEP_4) | instskip(NEXT) | instid1(VALU_DEP_3)
	v_dual_sub_f32 v20, v10, v20 :: v_dual_add_nc_u32 v39, 0x2800, v69
	v_dual_sub_f32 v19, v9, v47 :: v_dual_sub_f32 v2, v26, v2
	s_delay_alu instid0(VALU_DEP_3)
	v_sub_f32_e32 v13, v3, v41
	v_sub_f32_e32 v1, v25, v49
	v_fma_f32 v21, v23, 2.0, -v11
	v_fma_f32 v22, v24, 2.0, -v12
	;; [unrolled: 1-line block ×10, first 2 shown]
	global_wb scope:SCOPE_SE
	s_barrier_signal -1
	s_barrier_wait -1
	global_inv scope:SCOPE_SE
	v_fma_f32 v55, v30, 2.0, -v1
	v_fma_f32 v56, v31, 2.0, -v2
	ds_store_2addr_b64 v32, v[21:22], v[11:12] offset1:18
	ds_store_2addr_b64 v33, v[3:4], v[13:14] offset1:18
	;; [unrolled: 1-line block ×6, first 2 shown]
	global_wb scope:SCOPE_SE
	s_wait_dscnt 0x0
	s_barrier_signal -1
	s_barrier_wait -1
	global_inv scope:SCOPE_SE
	ds_load_2addr_b64 v[33:36], v69 offset1:216
	ds_load_2addr_b64 v[49:52], v37 offset0:16 offset1:232
	ds_load_2addr_b64 v[45:48], v38 offset0:32 offset1:248
	;; [unrolled: 1-line block ×3, first 2 shown]
	ds_load_2addr_b64 v[37:40], v40 offset1:216
                                        ; implicit-def: $vgpr12
                                        ; implicit-def: $vgpr16
                                        ; implicit-def: $vgpr8
	s_and_saveexec_b32 s7, vcc_lo
	s_cbranch_execz .LBB0_32
; %bb.31:
	v_add_nc_u32_e32 v1, 0xc00, v69
	v_add_nc_u32_e32 v5, 0x1900, v69
	;; [unrolled: 1-line block ×4, first 2 shown]
	ds_load_2addr_b64 v[1:4], v1 offset0:12 offset1:228
	ds_load_2addr_b64 v[5:8], v5 offset0:28 offset1:244
	;; [unrolled: 1-line block ×4, first 2 shown]
	ds_load_b64 v[55:56], v68
	ds_load_b64 v[57:58], v69 offset:16992
.LBB0_32:
	s_wait_alu 0xfffe
	s_or_b32 exec_lo, exec_lo, s7
	v_and_b32_e32 v71, 3, v62
	v_lshrrev_b32_e32 v72, 2, v62
	s_delay_alu instid0(VALU_DEP_2) | instskip(NEXT) | instid1(VALU_DEP_2)
	v_mul_u32_u24_e32 v17, 9, v71
	v_mul_u32_u24_e32 v72, 40, v72
	s_delay_alu instid0(VALU_DEP_2)
	v_lshlrev_b32_e32 v59, 3, v17
	s_clause 0x4
	global_load_b128 v[21:24], v59, s[8:9] offset:16
	global_load_b128 v[17:20], v59, s[8:9] offset:32
	;; [unrolled: 1-line block ×4, first 2 shown]
	global_load_b64 v[59:60], v59, s[8:9] offset:80
	v_add_nc_u32_e32 v73, 0xb40, v68
	global_wb scope:SCOPE_SE
	s_wait_loadcnt_dscnt 0x0
	s_barrier_signal -1
	s_barrier_wait -1
	global_inv scope:SCOPE_SE
	v_mul_f32_e32 v76, v22, v36
	v_mul_f32_e32 v82, v20, v46
	v_or_b32_e32 v71, v72, v71
	v_mul_f32_e32 v78, v24, v50
	v_dual_mul_f32 v77, v22, v35 :: v_dual_add_nc_u32 v72, 0x5a0, v68
	v_dual_mul_f32 v79, v24, v49 :: v_dual_mul_f32 v84, v30, v48
	s_delay_alu instid0(VALU_DEP_4) | instskip(SKIP_2) | instid1(VALU_DEP_3)
	v_mul_u32_u24_e32 v74, 0x48, v71
	v_dual_mul_f32 v86, v32, v42 :: v_dual_add_nc_u32 v71, 0x10e0, v68
	v_dual_mul_f32 v81, v18, v51 :: v_dual_mul_f32 v90, v28, v38
	v_add3_u32 v74, 0, v74, v70
	v_dual_mul_f32 v85, v30, v47 :: v_dual_mul_f32 v92, v40, v60
	v_dual_mul_f32 v89, v26, v43 :: v_dual_fmac_f32 v78, v23, v49
	s_delay_alu instid0(VALU_DEP_3) | instskip(SKIP_3) | instid1(VALU_DEP_3)
	v_dual_fmac_f32 v82, v19, v45 :: v_dual_add_nc_u32 v75, 0x800, v74
	v_dual_mul_f32 v80, v18, v52 :: v_dual_mul_f32 v83, v20, v45
	v_dual_mul_f32 v88, v26, v44 :: v_dual_mul_f32 v87, v32, v41
	v_dual_fmac_f32 v76, v21, v35 :: v_dual_mul_f32 v91, v28, v37
	v_dual_fmac_f32 v80, v17, v51 :: v_dual_mul_f32 v93, v39, v60
	v_fmac_f32_e32 v84, v29, v47
	v_fma_f32 v77, v21, v36, -v77
	v_fma_f32 v35, v23, v50, -v79
	;; [unrolled: 1-line block ×3, first 2 shown]
	v_dual_fmac_f32 v92, v39, v59 :: v_dual_add_f32 v39, v33, v78
	v_dual_fmac_f32 v86, v31, v41 :: v_dual_sub_f32 v47, v78, v82
	v_fmac_f32_e32 v90, v27, v37
	v_fma_f32 v45, v19, v46, -v83
	v_fma_f32 v46, v29, v48, -v85
	s_delay_alu instid0(VALU_DEP_4)
	v_sub_f32_e32 v81, v82, v86
	v_fma_f32 v41, v31, v42, -v87
	v_fma_f32 v42, v25, v44, -v89
	;; [unrolled: 1-line block ×3, first 2 shown]
	v_fmac_f32_e32 v88, v25, v43
	v_fma_f32 v38, v40, v59, -v93
	v_dual_add_f32 v40, v82, v86 :: v_dual_add_f32 v79, v45, v41
	v_dual_sub_f32 v48, v90, v86 :: v_dual_sub_f32 v83, v35, v45
	v_add_f32_e32 v49, v78, v90
	v_dual_add_f32 v52, v34, v35 :: v_dual_add_f32 v87, v35, v37
	v_dual_add_f32 v101, v77, v36 :: v_dual_sub_f32 v104, v36, v46
	v_sub_f32_e32 v43, v35, v37
	v_dual_sub_f32 v44, v45, v41 :: v_dual_sub_f32 v51, v86, v90
	v_dual_sub_f32 v50, v82, v78 :: v_dual_sub_f32 v85, v37, v41
	;; [unrolled: 1-line block ×4, first 2 shown]
	v_dual_add_f32 v91, v76, v80 :: v_dual_add_f32 v102, v46, v42
	v_add_f32_e32 v93, v84, v88
	v_dual_sub_f32 v95, v46, v42 :: v_dual_sub_f32 v96, v80, v84
	v_dual_add_f32 v98, v80, v92 :: v_dual_sub_f32 v105, v38, v42
	v_sub_f32_e32 v97, v92, v88
	v_sub_f32_e32 v99, v84, v80
	v_dual_sub_f32 v100, v88, v92 :: v_dual_sub_f32 v107, v42, v38
	v_dual_sub_f32 v80, v80, v92 :: v_dual_add_f32 v39, v39, v82
	v_add_f32_e32 v106, v36, v38
	v_dual_sub_f32 v36, v46, v36 :: v_dual_add_f32 v45, v52, v45
	v_fma_f32 v82, -0.5, v40, v33
	v_add_f32_e32 v40, v47, v48
	v_fma_f32 v48, -0.5, v49, v33
	v_dual_add_f32 v46, v101, v46 :: v_dual_add_f32 v33, v50, v51
	v_fma_f32 v52, -0.5, v79, v34
	v_dual_add_f32 v47, v83, v85 :: v_dual_add_f32 v36, v36, v107
	v_fma_f32 v50, -0.5, v87, v34
	v_add_f32_e32 v34, v35, v89
	v_add_f32_e32 v35, v91, v84
	v_fma_f32 v49, -0.5, v93, v76
	v_dual_fmac_f32 v76, -0.5, v98 :: v_dual_add_f32 v79, v99, v100
	v_fma_f32 v83, -0.5, v102, v77
	v_fmac_f32_e32 v77, -0.5, v106
	v_add_f32_e32 v39, v39, v86
	v_dual_fmamk_f32 v85, v43, 0xbf737871, v82 :: v_dual_add_f32 v42, v46, v42
	v_fmamk_f32 v86, v44, 0x3f737871, v48
	v_dual_fmac_f32 v48, 0xbf737871, v44 :: v_dual_add_f32 v41, v45, v41
	v_dual_sub_f32 v103, v84, v88 :: v_dual_fmac_f32 v82, 0x3f737871, v43
	v_dual_add_f32 v84, v104, v105 :: v_dual_fmamk_f32 v87, v78, 0x3f737871, v52
	v_fmamk_f32 v46, v80, 0x3f737871, v83
	v_fmac_f32_e32 v52, 0xbf737871, v78
	v_dual_fmamk_f32 v89, v81, 0xbf737871, v50 :: v_dual_add_f32 v38, v42, v38
	v_add_f32_e32 v35, v35, v88
	v_fmamk_f32 v88, v95, 0x3f737871, v76
	v_fmac_f32_e32 v76, 0xbf737871, v95
	v_dual_fmac_f32 v48, 0x3f167918, v43 :: v_dual_add_f32 v37, v41, v37
	v_fmamk_f32 v45, v94, 0xbf737871, v49
	v_fmac_f32_e32 v49, 0x3f737871, v94
	v_fmac_f32_e32 v83, 0xbf737871, v80
	;; [unrolled: 1-line block ×3, first 2 shown]
	v_fmamk_f32 v91, v103, 0xbf737871, v77
	v_dual_fmac_f32 v52, 0xbf167918, v81 :: v_dual_add_f32 v35, v35, v92
	v_fmac_f32_e32 v50, 0x3f737871, v81
	s_delay_alu instid0(VALU_DEP_4) | instskip(SKIP_4) | instid1(VALU_DEP_4)
	v_fmac_f32_e32 v88, 0x3e9e377a, v79
	v_fmac_f32_e32 v77, 0x3f737871, v103
	v_dual_fmac_f32 v87, 0x3f167918, v81 :: v_dual_fmac_f32 v76, 0x3f167918, v94
	v_fmac_f32_e32 v52, 0x3e9e377a, v47
	v_dual_fmac_f32 v89, 0x3f167918, v78 :: v_dual_fmac_f32 v46, 0x3f167918, v103
	v_dual_fmac_f32 v77, 0xbf167918, v80 :: v_dual_fmac_f32 v50, 0xbf167918, v78
	s_delay_alu instid0(VALU_DEP_4) | instskip(SKIP_1) | instid1(VALU_DEP_3)
	v_dual_fmac_f32 v76, 0x3e9e377a, v79 :: v_dual_add_f32 v51, v96, v97
	v_dual_add_f32 v39, v39, v90 :: v_dual_fmac_f32 v82, 0x3f167918, v44
	v_fmac_f32_e32 v77, 0x3e9e377a, v36
	v_dual_fmac_f32 v85, 0xbf167918, v44 :: v_dual_fmac_f32 v86, 0xbf167918, v43
	v_dual_fmac_f32 v48, 0x3e9e377a, v33 :: v_dual_fmac_f32 v89, 0x3e9e377a, v34
	v_fmac_f32_e32 v50, 0x3e9e377a, v34
	v_fmac_f32_e32 v46, 0x3e9e377a, v84
	v_dual_add_f32 v34, v37, v38 :: v_dual_fmac_f32 v45, 0xbf167918, v95
	v_mul_f32_e32 v78, 0xbf737871, v77
	v_mul_f32_e32 v77, 0xbe9e377a, v77
	v_dual_fmac_f32 v85, 0x3e9e377a, v40 :: v_dual_fmac_f32 v86, 0x3e9e377a, v33
	v_dual_fmac_f32 v82, 0x3e9e377a, v40 :: v_dual_fmac_f32 v87, 0x3e9e377a, v47
	v_fmac_f32_e32 v45, 0x3e9e377a, v51
	v_add_f32_e32 v33, v39, v35
	v_dual_sub_f32 v35, v39, v35 :: v_dual_fmac_f32 v78, 0xbe9e377a, v76
	v_fmac_f32_e32 v77, 0x3f737871, v76
	v_mul_f32_e32 v47, 0xbf167918, v46
	v_mul_f32_e32 v46, 0x3f4f1bbd, v46
	v_fmac_f32_e32 v49, 0x3f167918, v95
	s_delay_alu instid0(VALU_DEP_4) | instskip(NEXT) | instid1(VALU_DEP_4)
	v_dual_add_f32 v41, v48, v78 :: v_dual_add_f32 v42, v50, v77
	v_fmac_f32_e32 v47, 0x3f4f1bbd, v45
	s_delay_alu instid0(VALU_DEP_4) | instskip(NEXT) | instid1(VALU_DEP_2)
	v_dual_fmac_f32 v46, 0x3f167918, v45 :: v_dual_fmac_f32 v91, 0x3f167918, v80
	v_dual_sub_f32 v50, v50, v77 :: v_dual_sub_f32 v45, v85, v47
	s_delay_alu instid0(VALU_DEP_2) | instskip(NEXT) | instid1(VALU_DEP_3)
	v_dual_fmac_f32 v91, 0x3e9e377a, v36 :: v_dual_sub_f32 v36, v37, v38
	v_dual_add_f32 v38, v87, v46 :: v_dual_fmac_f32 v83, 0xbf167918, v103
	v_sub_f32_e32 v46, v87, v46
	s_delay_alu instid0(VALU_DEP_3) | instskip(SKIP_1) | instid1(VALU_DEP_4)
	v_mul_f32_e32 v80, 0x3e9e377a, v91
	v_add_f32_e32 v37, v85, v47
	v_fmac_f32_e32 v83, 0x3e9e377a, v84
	s_delay_alu instid0(VALU_DEP_3) | instskip(SKIP_2) | instid1(VALU_DEP_4)
	v_fmac_f32_e32 v80, 0x3f737871, v88
	v_fmac_f32_e32 v49, 0x3e9e377a, v51
	v_mul_f32_e32 v51, 0xbf737871, v91
	v_mul_f32_e32 v79, 0xbf167918, v83
	s_delay_alu instid0(VALU_DEP_4) | instskip(NEXT) | instid1(VALU_DEP_3)
	v_dual_mul_f32 v81, 0xbf4f1bbd, v83 :: v_dual_add_f32 v40, v89, v80
	v_fmac_f32_e32 v51, 0x3e9e377a, v88
	s_delay_alu instid0(VALU_DEP_3) | instskip(NEXT) | instid1(VALU_DEP_3)
	v_fmac_f32_e32 v79, 0xbf4f1bbd, v49
	v_fmac_f32_e32 v81, 0x3f167918, v49
	v_dual_sub_f32 v49, v48, v78 :: v_dual_sub_f32 v48, v89, v80
	s_delay_alu instid0(VALU_DEP_4) | instskip(NEXT) | instid1(VALU_DEP_3)
	v_add_f32_e32 v39, v86, v51
	v_dual_add_f32 v43, v82, v79 :: v_dual_add_f32 v44, v52, v81
	v_sub_f32_e32 v47, v86, v51
	v_dual_sub_f32 v51, v82, v79 :: v_dual_sub_f32 v52, v52, v81
	ds_store_2addr_b64 v74, v[33:34], v[37:38] offset1:36
	ds_store_2addr_b64 v74, v[39:40], v[41:42] offset0:72 offset1:108
	ds_store_2addr_b64 v74, v[43:44], v[35:36] offset0:144 offset1:180
	;; [unrolled: 1-line block ×4, first 2 shown]
	s_and_saveexec_b32 s7, vcc_lo
	s_cbranch_execz .LBB0_34
; %bb.33:
	v_mul_f32_e32 v33, v7, v20
	v_mul_f32_e32 v34, v15, v32
	v_mul_f32_e32 v36, v11, v28
	v_mul_f32_e32 v28, v12, v28
	v_mul_f32_e32 v20, v8, v20
	s_delay_alu instid0(VALU_DEP_3) | instskip(NEXT) | instid1(VALU_DEP_3)
	v_fma_f32 v12, v12, v27, -v36
	v_dual_fmac_f32 v28, v11, v27 :: v_dual_mul_f32 v27, v6, v18
	v_fma_f32 v34, v16, v31, -v34
	v_mul_f32_e32 v16, v16, v32
	v_mul_f32_e32 v32, v14, v30
	v_fma_f32 v33, v8, v19, -v33
	v_mul_f32_e32 v35, v3, v24
	v_fmac_f32_e32 v27, v5, v17
	s_delay_alu instid0(VALU_DEP_4) | instskip(SKIP_1) | instid1(VALU_DEP_4)
	v_dual_sub_f32 v11, v12, v34 :: v_dual_fmac_f32 v32, v13, v29
	v_mul_f32_e32 v8, v13, v30
	v_fma_f32 v35, v4, v23, -v35
	v_mul_f32_e32 v24, v4, v24
	v_add_f32_e32 v4, v33, v34
	v_dual_mul_f32 v13, v9, v26 :: v_dual_fmac_f32 v16, v15, v31
	s_delay_alu instid0(VALU_DEP_3) | instskip(NEXT) | instid1(VALU_DEP_3)
	v_dual_mul_f32 v15, v10, v26 :: v_dual_fmac_f32 v24, v3, v23
	v_fma_f32 v23, -0.5, v4, v56
	v_dual_fmac_f32 v20, v7, v19 :: v_dual_mul_f32 v7, v58, v60
	s_delay_alu instid0(VALU_DEP_3) | instskip(SKIP_2) | instid1(VALU_DEP_4)
	v_dual_fmac_f32 v15, v9, v25 :: v_dual_sub_f32 v4, v24, v28
	v_mul_f32_e32 v19, v2, v22
	v_mul_f32_e32 v9, v1, v22
	v_fmac_f32_e32 v7, v57, v59
	v_fma_f32 v10, v10, v25, -v13
	v_sub_f32_e32 v3, v35, v33
	v_fmac_f32_e32 v19, v1, v21
	v_mul_f32_e32 v1, v5, v18
	v_dual_mul_f32 v5, v57, v60 :: v_dual_sub_f32 v26, v7, v15
	v_fma_f32 v9, v2, v21, -v9
	v_add_f32_e32 v3, v3, v11
	s_delay_alu instid0(VALU_DEP_4)
	v_fma_f32 v1, v6, v17, -v1
	v_sub_f32_e32 v17, v27, v7
	v_add_f32_e32 v13, v32, v15
	v_fma_f32 v8, v14, v29, -v8
	v_fma_f32 v5, v58, v59, -v5
	v_dual_sub_f32 v25, v32, v15 :: v_dual_sub_f32 v6, v27, v32
	v_fmamk_f32 v31, v4, 0xbf737871, v23
	s_delay_alu instid0(VALU_DEP_4)
	v_add_f32_e32 v2, v8, v10
	v_fma_f32 v13, -0.5, v13, v19
	v_sub_f32_e32 v18, v1, v5
	v_sub_f32_e32 v30, v8, v10
	v_add_f32_e32 v6, v6, v26
	v_fma_f32 v14, -0.5, v2, v9
	s_delay_alu instid0(VALU_DEP_4) | instskip(SKIP_2) | instid1(VALU_DEP_4)
	v_dual_sub_f32 v2, v1, v8 :: v_dual_fmamk_f32 v29, v18, 0x3f737871, v13
	v_sub_f32_e32 v36, v20, v16
	v_add_f32_e32 v38, v1, v5
	v_fmamk_f32 v22, v17, 0xbf737871, v14
	v_sub_f32_e32 v21, v5, v10
	v_fmac_f32_e32 v29, 0x3f167918, v30
	v_fmac_f32_e32 v31, 0xbf167918, v36
	s_delay_alu instid0(VALU_DEP_4) | instskip(NEXT) | instid1(VALU_DEP_4)
	v_dual_add_f32 v39, v27, v7 :: v_dual_fmac_f32 v22, 0xbf167918, v25
	v_add_f32_e32 v21, v2, v21
	s_delay_alu instid0(VALU_DEP_4) | instskip(NEXT) | instid1(VALU_DEP_4)
	v_fmac_f32_e32 v29, 0x3e9e377a, v6
	v_dual_fmac_f32 v31, 0x3e9e377a, v3 :: v_dual_sub_f32 v40, v34, v12
	v_add_f32_e32 v26, v35, v12
	s_delay_alu instid0(VALU_DEP_4) | instskip(SKIP_3) | instid1(VALU_DEP_4)
	v_fmac_f32_e32 v22, 0x3e9e377a, v21
	v_fma_f32 v38, -0.5, v38, v9
	v_fma_f32 v39, -0.5, v39, v19
	v_dual_sub_f32 v37, v33, v35 :: v_dual_sub_f32 v44, v10, v5
	v_mul_f32_e32 v11, 0xbf4f1bbd, v22
	v_fma_f32 v26, -0.5, v26, v56
	s_delay_alu instid0(VALU_DEP_4) | instskip(NEXT) | instid1(VALU_DEP_3)
	v_dual_sub_f32 v41, v32, v27 :: v_dual_fmamk_f32 v46, v30, 0xbf737871, v39
	v_dual_sub_f32 v42, v15, v7 :: v_dual_fmac_f32 v11, 0x3f167918, v29
	v_sub_f32_e32 v43, v8, v1
	v_fmamk_f32 v45, v25, 0x3f737871, v38
	v_dual_fmac_f32 v39, 0x3f737871, v30 :: v_dual_fmac_f32 v14, 0x3f737871, v17
	s_delay_alu instid0(VALU_DEP_4) | instskip(SKIP_1) | instid1(VALU_DEP_4)
	v_dual_sub_f32 v2, v31, v11 :: v_dual_add_f32 v41, v41, v42
	v_fmac_f32_e32 v38, 0xbf737871, v25
	v_dual_add_f32 v42, v43, v44 :: v_dual_fmac_f32 v45, 0xbf167918, v17
	v_fmac_f32_e32 v46, 0x3f167918, v18
	v_fmac_f32_e32 v39, 0xbf167918, v18
	v_dual_fmac_f32 v13, 0xbf737871, v18 :: v_dual_add_f32 v18, v56, v35
	v_fmamk_f32 v47, v36, 0x3f737871, v26
	v_dual_fmac_f32 v26, 0xbf737871, v36 :: v_dual_add_f32 v1, v9, v1
	v_dual_add_f32 v37, v37, v40 :: v_dual_fmac_f32 v46, 0x3e9e377a, v41
	v_fmac_f32_e32 v38, 0x3f167918, v17
	s_delay_alu instid0(VALU_DEP_3)
	v_fmac_f32_e32 v26, 0x3f167918, v4
	v_fmac_f32_e32 v45, 0x3e9e377a, v42
	v_add_f32_e32 v1, v1, v8
	v_fmac_f32_e32 v47, 0xbf167918, v4
	v_fmac_f32_e32 v23, 0x3f737871, v4
	v_fmac_f32_e32 v26, 0x3e9e377a, v37
	s_delay_alu instid0(VALU_DEP_4) | instskip(SKIP_3) | instid1(VALU_DEP_4)
	v_dual_mul_f32 v40, 0xbe9e377a, v45 :: v_dual_add_f32 v1, v1, v10
	v_add_f32_e32 v4, v18, v33
	v_fmac_f32_e32 v38, 0x3e9e377a, v42
	v_dual_fmac_f32 v14, 0x3f167918, v25 :: v_dual_fmac_f32 v23, 0x3f167918, v36
	v_fmac_f32_e32 v40, 0x3f737871, v46
	s_delay_alu instid0(VALU_DEP_4) | instskip(NEXT) | instid1(VALU_DEP_3)
	v_dual_add_f32 v4, v4, v34 :: v_dual_fmac_f32 v47, 0x3e9e377a, v37
	v_dual_mul_f32 v17, 0x3e9e377a, v38 :: v_dual_fmac_f32 v14, 0x3e9e377a, v21
	v_add_f32_e32 v25, v1, v5
	s_delay_alu instid0(VALU_DEP_3) | instskip(SKIP_3) | instid1(VALU_DEP_3)
	v_add_f32_e32 v21, v4, v12
	v_fmac_f32_e32 v13, 0xbf167918, v30
	v_sub_f32_e32 v9, v33, v34
	v_dual_mul_f32 v18, 0x3f4f1bbd, v14 :: v_dual_add_f32 v1, v20, v16
	v_dual_sub_f32 v10, v21, v25 :: v_dual_fmac_f32 v13, 0x3e9e377a, v6
	v_fmac_f32_e32 v23, 0x3e9e377a, v3
	v_add_f32_e32 v3, v24, v28
	s_delay_alu instid0(VALU_DEP_4)
	v_fma_f32 v30, -0.5, v1, v55
	v_sub_f32_e32 v1, v35, v12
	v_sub_f32_e32 v12, v20, v24
	v_dual_fmac_f32 v18, 0x3f167918, v13 :: v_dual_sub_f32 v5, v24, v20
	v_mul_f32_e32 v22, 0xbf167918, v22
	v_fma_f32 v33, -0.5, v3, v55
	v_sub_f32_e32 v3, v28, v16
	v_sub_f32_e32 v4, v47, v40
	v_fmamk_f32 v34, v1, 0x3f737871, v30
	v_fmac_f32_e32 v22, 0xbf4f1bbd, v29
	v_fmamk_f32 v36, v9, 0xbf737871, v33
	v_add_f32_e32 v3, v5, v3
	v_sub_f32_e32 v35, v16, v28
	v_mul_f32_e32 v29, 0xbf737871, v45
	s_delay_alu instid0(VALU_DEP_4) | instskip(SKIP_1) | instid1(VALU_DEP_4)
	v_fmac_f32_e32 v36, 0x3f167918, v1
	v_fmac_f32_e32 v33, 0x3f737871, v9
	v_dual_add_f32 v5, v12, v35 :: v_dual_fmac_f32 v34, 0x3f167918, v9
	v_fmac_f32_e32 v30, 0xbf737871, v1
	s_delay_alu instid0(VALU_DEP_3) | instskip(NEXT) | instid1(VALU_DEP_3)
	v_dual_add_f32 v12, v55, v24 :: v_dual_fmac_f32 v33, 0xbf167918, v1
	v_fmac_f32_e32 v36, 0x3e9e377a, v5
	v_dual_fmac_f32 v39, 0x3e9e377a, v41 :: v_dual_sub_f32 v8, v23, v18
	s_delay_alu instid0(VALU_DEP_4) | instskip(NEXT) | instid1(VALU_DEP_4)
	v_dual_add_f32 v19, v19, v27 :: v_dual_fmac_f32 v30, 0xbf167918, v9
	v_add_f32_e32 v1, v12, v20
	s_delay_alu instid0(VALU_DEP_3)
	v_fmac_f32_e32 v17, 0x3f737871, v39
	v_mul_f32_e32 v24, 0xbf737871, v38
	v_fmac_f32_e32 v33, 0x3e9e377a, v5
	v_dual_add_f32 v5, v19, v32 :: v_dual_add_f32 v20, v21, v25
	v_fmac_f32_e32 v34, 0x3e9e377a, v3
	v_mul_f32_e32 v19, 0xbf167918, v14
	v_dual_fmac_f32 v30, 0x3e9e377a, v3 :: v_dual_add_f32 v1, v1, v16
	s_delay_alu instid0(VALU_DEP_4) | instskip(NEXT) | instid1(VALU_DEP_3)
	v_dual_add_f32 v18, v23, v18 :: v_dual_add_f32 v5, v5, v15
	v_dual_fmac_f32 v19, 0x3f4f1bbd, v13 :: v_dual_add_f32 v12, v31, v11
	s_delay_alu instid0(VALU_DEP_3)
	v_add_f32_e32 v15, v1, v28
	v_sub_f32_e32 v1, v34, v22
	v_dual_add_f32 v11, v34, v22 :: v_dual_add_nc_u32 v22, 0x3c00, v69
	v_add_f32_e32 v27, v5, v7
	v_dual_fmac_f32 v29, 0xbe9e377a, v46 :: v_dual_add_f32 v16, v26, v17
	v_fmac_f32_e32 v24, 0x3e9e377a, v39
	v_sub_f32_e32 v6, v26, v17
	v_sub_f32_e32 v7, v30, v19
	v_add_f32_e32 v17, v30, v19
	v_add_f32_e32 v19, v15, v27
	v_add_nc_u32_e32 v21, 0x3800, v69
	v_sub_f32_e32 v9, v15, v27
	v_dual_add_f32 v14, v47, v40 :: v_dual_add_f32 v13, v36, v29
	v_add_f32_e32 v15, v33, v24
	v_sub_f32_e32 v5, v33, v24
	v_sub_f32_e32 v3, v36, v29
	v_add_nc_u32_e32 v23, 0x4000, v69
	ds_store_2addr_b64 v21, v[19:20], v[17:18] offset0:8 offset1:44
	ds_store_2addr_b64 v21, v[15:16], v[13:14] offset0:80 offset1:116
	;; [unrolled: 1-line block ×5, first 2 shown]
.LBB0_34:
	s_wait_alu 0xfffe
	s_or_b32 exec_lo, exec_lo, s7
	v_mul_lo_u16 v1, v61, 13
	v_lshlrev_b32_e32 v2, 4, v62
	global_wb scope:SCOPE_SE
	s_wait_dscnt 0x0
	s_barrier_signal -1
	s_barrier_wait -1
	global_inv scope:SCOPE_SE
	v_lshrrev_b16 v25, 9, v1
	v_mul_lo_u16 v5, 0x67, v64
	global_load_b128 v[1:4], v2, s[8:9] offset:304
	v_mul_lo_u16 v6, 0x67, v66
	v_mul_u32_u24_e32 v44, 0x48, v62
	v_and_b32_e32 v45, 0xffff, v25
	v_lshrrev_b16 v26, 12, v5
	v_mul_lo_u16 v5, v25, 40
	v_lshrrev_b16 v27, 12, v6
	v_add3_u32 v44, 0, v44, v70
	s_delay_alu instid0(VALU_DEP_4) | instskip(NEXT) | instid1(VALU_DEP_4)
	v_mul_lo_u16 v6, v26, 40
	v_sub_nc_u16 v5, v61, v5
	s_delay_alu instid0(VALU_DEP_4) | instskip(NEXT) | instid1(VALU_DEP_3)
	v_mul_lo_u16 v7, v27, 40
	v_sub_nc_u16 v6, v64, v6
	s_delay_alu instid0(VALU_DEP_3) | instskip(NEXT) | instid1(VALU_DEP_3)
	v_and_b32_e32 v41, 0xff, v5
	v_sub_nc_u16 v5, v66, v7
	s_delay_alu instid0(VALU_DEP_3) | instskip(NEXT) | instid1(VALU_DEP_3)
	v_and_b32_e32 v42, 0xff, v6
	v_lshlrev_b32_e32 v6, 4, v41
	s_delay_alu instid0(VALU_DEP_3)
	v_and_b32_e32 v43, 0xff, v5
	global_load_b128 v[5:8], v6, s[8:9] offset:304
	v_lshlrev_b32_e32 v9, 4, v42
	v_lshlrev_b32_e32 v13, 4, v43
	s_clause 0x1
	global_load_b128 v[9:12], v9, s[8:9] offset:304
	global_load_b128 v[13:16], v13, s[8:9] offset:304
	v_add_nc_u32_e32 v17, 0x2600, v69
	ds_load_b64 v[29:30], v69
	ds_load_b64 v[31:32], v72
	;; [unrolled: 1-line block ×4, first 2 shown]
	ds_load_2addr_b64 v[17:20], v17 offset0:44 offset1:224
	ds_load_b64 v[37:38], v68
	ds_load_b64 v[39:40], v69 offset:15840
	v_and_b32_e32 v46, 0xffff, v26
	s_delay_alu instid0(VALU_DEP_1) | instskip(NEXT) | instid1(VALU_DEP_1)
	v_mad_u32_u24 v42, 0x78, v46, v42
	v_mul_u32_u24_e32 v42, 0x48, v42
	s_wait_loadcnt_dscnt 0x302
	v_mul_f32_e32 v46, v4, v20
	v_mad_u32_u24 v41, 0x78, v45, v41
	v_mul_f32_e32 v45, v2, v34
	v_mul_f32_e32 v2, v2, v33
	;; [unrolled: 1-line block ×3, first 2 shown]
	v_fmac_f32_e32 v46, v3, v19
	v_add3_u32 v19, 0, v42, v70
	v_fmac_f32_e32 v45, v1, v33
	v_add_nc_u32_e32 v28, 0x3200, v69
	v_fma_f32 v1, v1, v34, -v2
	v_and_b32_e32 v47, 0xffff, v27
	v_fma_f32 v2, v3, v20, -v4
	v_add_nc_u32_e32 v21, 0x1c00, v69
	v_add_f32_e32 v3, v45, v46
	ds_load_2addr_b64 v[25:28], v28 offset0:20 offset1:200
	v_add_f32_e32 v42, v30, v1
	v_sub_f32_e32 v34, v1, v2
	ds_load_2addr_b64 v[21:24], v21 offset0:4 offset1:184
	v_mad_u32_u24 v43, 0x78, v47, v43
	v_add_f32_e32 v4, v29, v45
	v_fma_f32 v29, -0.5, v3, v29
	global_wb scope:SCOPE_SE
	s_wait_loadcnt_dscnt 0x0
	s_barrier_signal -1
	v_mul_u32_u24_e32 v43, 0x48, v43
	s_barrier_wait -1
	v_fmamk_f32 v3, v34, 0xbf5db3d7, v29
	v_fmac_f32_e32 v29, 0x3f5db3d7, v34
	global_inv scope:SCOPE_SE
	v_add3_u32 v20, 0, v43, v70
	v_sub_f32_e32 v43, v45, v46
	v_add_f32_e32 v33, v1, v2
	v_add_f32_e32 v2, v42, v2
	v_mul_f32_e32 v45, v18, v14
	v_mul_u32_u24_e32 v41, 0x48, v41
	v_mul_f32_e32 v34, v8, v26
	v_dual_fmac_f32 v30, -0.5, v33 :: v_dual_add_f32 v1, v4, v46
	v_dual_mul_f32 v33, v6, v22 :: v_dual_mul_f32 v8, v8, v25
	v_mul_f32_e32 v6, v6, v21
	s_delay_alu instid0(VALU_DEP_3)
	v_fmamk_f32 v4, v43, 0x3f5db3d7, v30
	v_dual_fmac_f32 v30, 0xbf5db3d7, v43 :: v_dual_mul_f32 v43, v28, v12
	v_mul_f32_e32 v42, v10, v24
	v_dual_mul_f32 v10, v10, v23 :: v_dual_fmac_f32 v45, v17, v13
	v_mul_f32_e32 v12, v27, v12
	ds_store_b64 v44, v[1:2]
	ds_store_b64 v44, v[3:4] offset:2880
	ds_store_b64 v44, v[29:30] offset:5760
	v_dual_fmac_f32 v33, v5, v21 :: v_dual_mul_f32 v46, v40, v16
	v_fma_f32 v1, v5, v22, -v6
	v_fma_f32 v2, v7, v26, -v8
	v_mul_f32_e32 v16, v39, v16
	v_fmac_f32_e32 v34, v7, v25
	v_fma_f32 v3, v9, v24, -v10
	v_fmac_f32_e32 v43, v27, v11
	v_fma_f32 v4, v28, v11, -v12
	v_add_f32_e32 v11, v1, v2
	v_mul_f32_e32 v14, v17, v14
	v_fmac_f32_e32 v42, v9, v23
	v_add_f32_e32 v7, v37, v33
	v_dual_add_f32 v17, v3, v4 :: v_dual_add_f32 v8, v33, v34
	v_add_f32_e32 v21, v35, v45
	v_sub_f32_e32 v9, v1, v2
	v_fma_f32 v6, v40, v15, -v16
	v_fmac_f32_e32 v46, v39, v15
	v_sub_f32_e32 v15, v3, v4
	v_fma_f32 v5, v18, v13, -v14
	v_add_f32_e32 v14, v42, v43
	v_dual_add_f32 v10, v38, v1 :: v_dual_add_f32 v13, v31, v42
	v_fma_f32 v37, -0.5, v8, v37
	s_delay_alu instid0(VALU_DEP_4)
	v_sub_f32_e32 v23, v5, v6
	v_add_f32_e32 v25, v5, v6
	v_fma_f32 v31, -0.5, v14, v31
	v_add_f32_e32 v22, v45, v46
	v_sub_f32_e32 v12, v33, v34
	v_dual_add_f32 v16, v32, v3 :: v_dual_add_f32 v1, v7, v34
	v_dual_add_f32 v2, v10, v2 :: v_dual_fmamk_f32 v7, v9, 0xbf5db3d7, v37
	v_fmac_f32_e32 v37, 0x3f5db3d7, v9
	v_fmamk_f32 v9, v15, 0xbf5db3d7, v31
	v_fma_f32 v35, -0.5, v22, v35
	v_fmac_f32_e32 v38, -0.5, v11
	v_sub_f32_e32 v18, v42, v43
	v_fmac_f32_e32 v32, -0.5, v17
	v_add3_u32 v41, 0, v41, v70
	v_dual_add_f32 v24, v36, v5 :: v_dual_add_f32 v3, v13, v43
	v_dual_sub_f32 v26, v45, v46 :: v_dual_fmac_f32 v31, 0x3f5db3d7, v15
	v_dual_fmac_f32 v36, -0.5, v25 :: v_dual_fmamk_f32 v11, v23, 0xbf5db3d7, v35
	v_fmamk_f32 v8, v12, 0x3f5db3d7, v38
	v_fmac_f32_e32 v38, 0xbf5db3d7, v12
	v_dual_add_f32 v4, v16, v4 :: v_dual_fmac_f32 v35, 0x3f5db3d7, v23
	v_dual_add_f32 v5, v21, v46 :: v_dual_fmamk_f32 v10, v18, 0x3f5db3d7, v32
	v_add_f32_e32 v6, v24, v6
	v_fmac_f32_e32 v32, 0xbf5db3d7, v18
	v_fmamk_f32 v12, v26, 0x3f5db3d7, v36
	v_fmac_f32_e32 v36, 0xbf5db3d7, v26
	ds_store_b64 v41, v[1:2]
	ds_store_b64 v41, v[7:8] offset:2880
	ds_store_b64 v41, v[37:38] offset:5760
	ds_store_b64 v19, v[3:4]
	ds_store_b64 v19, v[9:10] offset:2880
	ds_store_b64 v19, v[31:32] offset:5760
	;; [unrolled: 3-line block ×3, first 2 shown]
	global_wb scope:SCOPE_SE
	s_wait_dscnt 0x0
	s_barrier_signal -1
	s_barrier_wait -1
	global_inv scope:SCOPE_SE
	s_and_saveexec_b32 s7, s5
	s_cbranch_execz .LBB0_36
; %bb.35:
	v_subrev_nc_u32_e32 v1, 20, v62
	v_cmp_gt_u32_e32 vcc_lo, 0xb4, v0
	v_subrev_nc_u32_e32 v3, 40, v62
	v_subrev_nc_u32_e32 v17, 60, v62
	s_load_b64 s[0:1], s[0:1], 0x8
	v_dual_mov_b32 v2, 0 :: v_dual_cndmask_b32 v1, v1, v63
	v_cmp_gt_u32_e32 vcc_lo, 0x168, v0
	v_add_nc_u32_e32 v22, 0xffffff9c, v62
	s_delay_alu instid0(VALU_DEP_3) | instskip(NEXT) | instid1(VALU_DEP_4)
	v_mov_b32_e32 v26, v2
	v_mul_lo_u32 v5, v54, v1
	s_wait_alu 0xfffd
	v_cndmask_b32_e32 v25, v3, v67, vcc_lo
	v_add_nc_u32_e32 v3, 0x78, v1
	v_mov_b32_e32 v27, v2
	v_mov_b32_e32 v31, v2
	;; [unrolled: 1-line block ×3, first 2 shown]
	v_lshlrev_b64_e32 v[13:14], 3, v[25:26]
	v_mul_lo_u32 v7, v54, v3
	v_lshlrev_b64_e32 v[3:4], 3, v[1:2]
	v_add_nc_u32_e32 v6, 0x78, v25
	v_mul_lo_u32 v15, v54, v25
	s_delay_alu instid0(VALU_DEP_3) | instskip(SKIP_1) | instid1(VALU_DEP_4)
	v_add_co_u32 v3, vcc_lo, s8, v3
	s_wait_alu 0xfffd
	v_add_co_ci_u32_e32 v4, vcc_lo, s9, v4, vcc_lo
	v_add_co_u32 v13, vcc_lo, s8, v13
	s_wait_alu 0xfffd
	v_add_co_ci_u32_e32 v14, vcc_lo, s9, v14, vcc_lo
	v_cmp_gt_u32_e32 vcc_lo, 0x21c, v0
	v_and_b32_e32 v8, 0xff, v7
	v_lshrrev_b32_e32 v7, 5, v7
	v_mul_lo_u32 v16, v54, v6
	v_and_b32_e32 v6, 0xff, v5
	v_lshrrev_b32_e32 v5, 5, v5
	s_wait_alu 0xfffd
	v_cndmask_b32_e32 v26, v17, v66, vcc_lo
	v_lshlrev_b32_e32 v8, 3, v8
	v_and_b32_e32 v17, 0xff, v15
	v_lshrrev_b32_e32 v20, 5, v15
	v_add_nc_u32_e32 v15, 0xffffffb0, v62
	v_and_b32_e32 v7, 0x7f8, v7
	v_lshlrev_b32_e32 v6, 3, v6
	v_and_b32_e32 v9, 0x7f8, v5
	global_load_b64 v[11:12], v[3:4], off offset:944
	s_wait_kmcnt 0x0
	s_clause 0x3
	global_load_b64 v[3:4], v8, s[0:1]
	global_load_b64 v[7:8], v7, s[0:1] offset:2048
	global_load_b64 v[5:6], v6, s[0:1]
	global_load_b64 v[9:10], v9, s[0:1] offset:2048
	global_load_b64 v[28:29], v[13:14], off offset:944
	v_lshlrev_b64_e32 v[13:14], 3, v[26:27]
	v_and_b32_e32 v18, 0xff, v16
	v_lshrrev_b32_e32 v16, 5, v16
	v_add_nc_u32_e32 v21, 0x78, v26
	s_delay_alu instid0(VALU_DEP_4)
	v_add_co_u32 v13, vcc_lo, s8, v13
	s_wait_alu 0xfffd
	v_add_co_ci_u32_e32 v14, vcc_lo, s9, v14, vcc_lo
	v_cmp_gt_u32_e32 vcc_lo, 0x2d0, v0
	v_and_b32_e32 v19, 0x7f8, v16
	v_lshlrev_b32_e32 v16, 3, v62
	s_clause 0x1
	global_load_b64 v[32:33], v16, s[8:9] offset:944
	global_load_b64 v[34:35], v[13:14], off offset:944
	s_wait_alu 0xfffd
	v_cndmask_b32_e32 v30, v15, v64, vcc_lo
	v_mul_lo_u32 v15, v54, v65
	v_mul_lo_u32 v16, v54, v62
	v_cmp_gt_u32_e32 vcc_lo, 0x384, v0
	v_lshlrev_b32_e32 v18, 3, v18
	v_lshlrev_b64_e32 v[13:14], 3, v[30:31]
	s_wait_alu 0xfffd
	v_dual_cndmask_b32 v36, v22, v61 :: v_dual_and_b32 v23, 0xff, v15
	v_lshrrev_b32_e32 v15, 5, v15
	v_and_b32_e32 v0, 0xff, v16
	v_lshrrev_b32_e32 v16, 5, v16
	v_add_co_u32 v13, vcc_lo, s8, v13
	v_lshlrev_b32_e32 v22, 3, v23
	v_and_b32_e32 v15, 0x7f8, v15
	s_delay_alu instid0(VALU_DEP_4)
	v_and_b32_e32 v23, 0x7f8, v16
	s_clause 0x1
	global_load_b64 v[38:39], v22, s[0:1]
	global_load_b64 v[40:41], v15, s[0:1] offset:2048
	v_lshlrev_b64_e32 v[15:16], 3, v[36:37]
	s_wait_alu 0xfffd
	v_add_co_ci_u32_e32 v14, vcc_lo, s9, v14, vcc_lo
	v_lshlrev_b32_e32 v0, 3, v0
	s_clause 0x1
	global_load_b64 v[42:43], v0, s[0:1]
	global_load_b64 v[44:45], v23, s[0:1] offset:2048
	v_add_co_u32 v15, vcc_lo, s8, v15
	s_wait_alu 0xfffd
	v_add_co_ci_u32_e32 v16, vcc_lo, s9, v16, vcc_lo
	global_load_b64 v[46:47], v[13:14], off offset:944
	v_and_b32_e32 v0, 0x7f8, v20
	v_mul_lo_u32 v20, v54, v21
	global_load_b64 v[48:49], v[15:16], off offset:944
	v_mul_lo_u32 v13, v54, v26
	v_add_nc_u32_e32 v14, 0x78, v30
	v_lshlrev_b32_e32 v17, 3, v17
	s_clause 0x3
	global_load_b64 v[50:51], v18, s[0:1]
	global_load_b64 v[55:56], v19, s[0:1] offset:2048
	global_load_b64 v[57:58], v17, s[0:1]
	global_load_b64 v[59:60], v0, s[0:1] offset:2048
	v_add_nc_u32_e32 v18, 0x78, v36
	v_mul_lo_u32 v14, v54, v14
	v_and_b32_e32 v0, 0xff, v20
	v_lshrrev_b32_e32 v15, 5, v20
	v_mul_lo_u32 v17, v54, v30
	v_and_b32_e32 v16, 0xff, v13
	v_lshrrev_b32_e32 v13, 5, v13
	v_mul_lo_u32 v18, v54, v18
	v_mul_lo_u32 v21, v54, v36
	v_lshlrev_b32_e32 v0, 3, v0
	v_and_b32_e32 v15, 0x7f8, v15
	v_lshlrev_b32_e32 v16, 3, v16
	v_and_b32_e32 v19, 0xff, v14
	v_and_b32_e32 v13, 0x7f8, v13
	v_lshrrev_b32_e32 v14, 5, v14
	v_and_b32_e32 v20, 0xff, v17
	s_clause 0x3
	global_load_b64 v[74:75], v0, s[0:1]
	global_load_b64 v[76:77], v15, s[0:1] offset:2048
	global_load_b64 v[78:79], v16, s[0:1]
	global_load_b64 v[80:81], v13, s[0:1] offset:2048
	v_lshrrev_b32_e32 v15, 5, v17
	v_and_b32_e32 v16, 0xff, v18
	v_lshlrev_b32_e32 v0, 3, v19
	v_lshrrev_b32_e32 v17, 5, v18
	v_and_b32_e32 v18, 0xff, v21
	v_lshrrev_b32_e32 v19, 5, v21
	v_and_b32_e32 v13, 0x7f8, v14
	v_lshlrev_b32_e32 v14, 3, v20
	v_and_b32_e32 v15, 0x7f8, v15
	v_lshlrev_b32_e32 v16, 3, v16
	;; [unrolled: 2-line block ×3, first 2 shown]
	v_and_b32_e32 v19, 0x7f8, v19
	s_clause 0x7
	global_load_b64 v[82:83], v0, s[0:1]
	global_load_b64 v[84:85], v13, s[0:1] offset:2048
	global_load_b64 v[86:87], v14, s[0:1]
	global_load_b64 v[88:89], v15, s[0:1] offset:2048
	;; [unrolled: 2-line block ×4, first 2 shown]
	v_add_nc_u32_e32 v13, 0x3800, v69
	v_add_nc_u32_e32 v17, 0x1680, v68
	;; [unrolled: 1-line block ×4, first 2 shown]
	ds_load_b64 v[98:99], v73
	ds_load_b64 v[72:73], v72
	;; [unrolled: 1-line block ×4, first 2 shown]
	v_add_nc_u32_e32 v0, s6, v53
	ds_load_2addr_b64 v[13:16], v13 offset0:8 offset1:188
	ds_load_b64 v[52:53], v17
	ds_load_b64 v[70:71], v71
	ds_load_2addr_b64 v[17:20], v18 offset0:32 offset1:212
	ds_load_2addr_b64 v[21:24], v21 offset0:56 offset1:236
	v_sub_nc_u32_e32 v27, v61, v36
	v_sub_nc_u32_e32 v36, v64, v30
	;; [unrolled: 1-line block ×3, first 2 shown]
	v_mad_co_u64_u32 v[102:103], null, s4, v62, v[0:1]
	s_delay_alu instid0(VALU_DEP_4)
	v_add_nc_u32_e32 v27, v27, v61
	v_mad_co_u64_u32 v[104:105], null, s4, v65, v[0:1]
	v_mov_b32_e32 v103, v2
	v_mov_b32_e32 v105, v2
	v_sub_nc_u32_e32 v54, v67, v25
	v_add_nc_u32_e32 v64, v36, v64
	v_add_nc_u32_e32 v66, v37, v66
	v_mad_co_u64_u32 v[36:37], null, s4, v27, v[0:1]
	v_add_nc_u32_e32 v27, 0x78, v27
	v_lshlrev_b64_e32 v[25:26], 3, v[102:103]
	v_lshlrev_b64_e32 v[30:31], 3, v[104:105]
	v_add_nc_u32_e32 v54, v54, v67
	v_mad_co_u64_u32 v[61:62], null, s4, v64, v[0:1]
	v_dual_mov_b32 v37, v2 :: v_dual_add_nc_u32 v104, 0x78, v66
	v_mov_b32_e32 v62, v2
	v_add_co_u32 v25, vcc_lo, s2, v25
	s_wait_alu 0xfffd
	v_add_co_ci_u32_e32 v26, vcc_lo, s3, v26, vcc_lo
	v_lshlrev_b64_e32 v[36:37], 3, v[36:37]
	v_add_co_u32 v30, vcc_lo, s2, v30
	v_lshlrev_b64_e32 v[61:62], 3, v[61:62]
	s_wait_alu 0xfffd
	v_add_co_ci_u32_e32 v31, vcc_lo, s3, v31, vcc_lo
	s_delay_alu instid0(VALU_DEP_4)
	v_add_co_u32 v36, vcc_lo, s2, v36
	s_wait_alu 0xfffd
	v_add_co_ci_u32_e32 v37, vcc_lo, s3, v37, vcc_lo
	v_add_co_u32 v61, vcc_lo, s2, v61
	s_wait_alu 0xfffd
	v_add_co_ci_u32_e32 v62, vcc_lo, s3, v62, vcc_lo
	s_wait_loadcnt_dscnt 0x1804
	v_mul_f32_e32 v106, v29, v13
	v_mul_f32_e32 v29, v29, v14
	s_delay_alu instid0(VALU_DEP_2) | instskip(NEXT) | instid1(VALU_DEP_2)
	v_fma_f32 v14, v28, v14, -v106
	v_dual_fmac_f32 v29, v28, v13 :: v_dual_add_nc_u32 v102, 0x78, v64
	v_mad_co_u64_u32 v[64:65], null, s4, v66, v[0:1]
	v_mad_co_u64_u32 v[66:67], null, s4, v27, v[0:1]
	s_wait_dscnt 0x2
	s_delay_alu instid0(VALU_DEP_3)
	v_sub_f32_e32 v29, v70, v29
	v_mov_b32_e32 v65, v2
	v_dual_mov_b32 v67, v2 :: v_dual_sub_f32 v28, v71, v14
	s_wait_loadcnt_dscnt 0x1700
	v_mul_f32_e32 v27, v33, v21
	v_mul_f32_e32 v33, v33, v22
	v_lshlrev_b64_e32 v[64:65], 3, v[64:65]
	v_lshlrev_b64_e32 v[66:67], 3, v[66:67]
	s_wait_loadcnt 0x16
	v_mul_f32_e32 v107, v35, v19
	v_fma_f32 v22, v32, v22, -v27
	v_fmac_f32_e32 v33, v32, v21
	v_mul_f32_e32 v35, v35, v20
	v_add_co_u32 v64, vcc_lo, s2, v64
	s_wait_alu 0xfffd
	v_add_co_ci_u32_e32 v65, vcc_lo, s3, v65, vcc_lo
	v_sub_f32_e32 v32, v68, v33
	v_add_co_u32 v66, vcc_lo, s2, v66
	s_wait_alu 0xfffd
	v_add_co_ci_u32_e32 v67, vcc_lo, s3, v67, vcc_lo
	v_sub_f32_e32 v27, v69, v22
	v_fma_f32 v68, v68, 2.0, -v32
	v_fmac_f32_e32 v35, v34, v19
	s_wait_loadcnt 0x14
	v_mul_f32_e32 v33, v39, v41
	v_mul_f32_e32 v41, v38, v41
	v_fma_f32 v69, v69, 2.0, -v27
	v_sub_f32_e32 v35, v98, v35
	s_delay_alu instid0(VALU_DEP_4) | instskip(NEXT) | instid1(VALU_DEP_4)
	v_fma_f32 v33, v38, v40, -v33
	v_fmac_f32_e32 v41, v39, v40
	s_delay_alu instid0(VALU_DEP_1)
	v_mul_f32_e32 v19, v32, v41
	s_wait_loadcnt 0x11
	v_mul_f32_e32 v38, v47, v17
	v_mul_f32_e32 v39, v47, v18
	s_wait_loadcnt 0x10
	v_mul_f32_e32 v47, v49, v24
	v_mul_f32_e32 v40, v49, v23
	v_fma_f32 v18, v46, v18, -v38
	v_fmac_f32_e32 v39, v46, v17
	s_delay_alu instid0(VALU_DEP_4)
	v_fmac_f32_e32 v47, v48, v23
	v_mad_co_u64_u32 v[102:103], null, s4, v102, v[0:1]
	v_mov_b32_e32 v103, v2
	v_fma_f32 v17, v48, v24, -v40
	v_sub_f32_e32 v38, v72, v39
	s_wait_loadcnt 0xe
	v_dual_sub_f32 v40, v100, v47 :: v_dual_mul_f32 v23, v51, v56
	v_sub_f32_e32 v18, v73, v18
	v_lshlrev_b64_e32 v[102:103], 3, v[102:103]
	s_delay_alu instid0(VALU_DEP_1) | instskip(SKIP_1) | instid1(VALU_DEP_2)
	v_add_co_u32 v21, vcc_lo, s2, v102
	s_wait_alu 0xfffd
	v_add_co_ci_u32_e32 v22, vcc_lo, s3, v103, vcc_lo
	v_mul_f32_e32 v103, v15, v12
	v_mul_f32_e32 v12, v16, v12
	;; [unrolled: 1-line block ×4, first 2 shown]
	s_wait_loadcnt 0xa
	v_mul_f32_e32 v46, v75, v77
	v_fma_f32 v16, v16, v11, -v103
	v_fmac_f32_e32 v12, v15, v11
	v_fma_f32 v15, v34, v20, -v107
	v_fmac_f32_e32 v45, v44, v43
	v_fma_f32 v42, v42, v44, -v102
	s_delay_alu instid0(VALU_DEP_4) | instskip(NEXT) | instid1(VALU_DEP_4)
	v_dual_mul_f32 v11, v27, v41 :: v_dual_sub_f32 v24, v52, v12
	v_dual_sub_f32 v34, v99, v15 :: v_dual_mul_f32 v15, v4, v8
	v_dual_mul_f32 v8, v3, v8 :: v_dual_sub_f32 v39, v101, v17
	v_mul_f32_e32 v17, v6, v10
	v_mul_f32_e32 v10, v5, v10
	v_mul_f32_e32 v20, v45, v68
	v_sub_f32_e32 v16, v53, v16
	v_mul_f32_e32 v44, v57, v60
	v_fma_f32 v12, v27, v33, -v19
	v_fma_f32 v27, v52, 2.0, -v24
	v_fmac_f32_e32 v10, v6, v9
	v_mul_f32_e32 v41, v50, v56
	s_wait_loadcnt 0x8
	v_dual_mul_f32 v13, v42, v68 :: v_dual_mul_f32 v48, v79, v81
	v_fmac_f32_e32 v11, v32, v33
	v_fma_f32 v14, v69, v42, -v20
	v_fma_f32 v20, v53, 2.0, -v16
	v_fma_f32 v33, v70, 2.0, -v29
	v_dual_fmac_f32 v8, v4, v7 :: v_dual_mul_f32 v49, v78, v81
	s_wait_loadcnt 0x2
	v_dual_mul_f32 v81, v91, v93 :: v_dual_fmac_f32 v44, v58, v59
	v_mul_f32_e32 v6, v27, v10
	v_fmac_f32_e32 v41, v51, v55
	v_mul_f32_e32 v43, v58, v60
	v_mul_f32_e32 v60, v82, v85
	;; [unrolled: 1-line block ×5, first 2 shown]
	v_fmac_f32_e32 v13, v69, v45
	v_fma_f32 v45, v98, 2.0, -v35
	v_fma_f32 v53, v72, 2.0, -v38
	v_fma_f32 v72, v5, v9, -v17
	v_mul_f32_e32 v4, v24, v8
	v_dual_mul_f32 v5, v20, v10 :: v_dual_mul_f32 v10, v33, v44
	v_fmac_f32_e32 v77, v87, v88
	v_fmac_f32_e32 v49, v79, v80
	v_mul_f32_e32 v56, v83, v85
	v_fmac_f32_e32 v60, v83, v84
	s_clause 0x1
	global_store_b64 v[25:26], v[13:14], off
	global_store_b64 v[30:31], v[11:12], off
	v_dual_mul_f32 v26, v53, v77 :: v_dual_fmac_f32 v47, v75, v76
	v_mul_f32_e32 v14, v45, v49
	v_mul_f32_e32 v85, v90, v93
	s_wait_loadcnt 0x0
	v_mul_f32_e32 v93, v94, v97
	v_mul_f32_e32 v89, v95, v97
	v_fma_f32 v69, v101, 2.0, -v39
	v_fma_f32 v70, v100, 2.0, -v40
	v_mul_f32_e32 v12, v35, v47
	v_fmac_f32_e32 v93, v95, v96
	v_fmac_f32_e32 v85, v91, v92
	v_fma_f32 v52, v73, 2.0, -v18
	v_fma_f32 v42, v99, 2.0, -v34
	;; [unrolled: 1-line block ×3, first 2 shown]
	v_fma_f32 v71, v3, v7, -v15
	v_fma_f32 v50, v50, v55, -v23
	v_dual_mul_f32 v3, v16, v8 :: v_dual_mul_f32 v8, v29, v41
	v_fma_f32 v43, v57, v59, -v43
	v_fma_f32 v57, v94, v96, -v89
	v_mul_f32_e32 v31, v70, v93
	v_mul_f32_e32 v23, v69, v93
	v_fma_f32 v51, v82, v84, -v56
	v_fma_f32 v56, v90, v92, -v81
	v_mul_f32_e32 v30, v40, v85
	v_mul_f32_e32 v19, v39, v85
	v_fma_f32 v55, v86, v88, -v68
	v_mul_f32_e32 v25, v38, v60
	v_mul_f32_e32 v17, v52, v77
	;; [unrolled: 1-line block ×3, first 2 shown]
	v_fma_f32 v48, v78, v80, -v48
	v_mul_f32_e32 v13, v42, v49
	v_fmac_f32_e32 v3, v24, v71
	v_fma_f32 v24, v69, v57, -v31
	v_fmac_f32_e32 v23, v70, v57
	v_fma_f32 v6, v20, v72, -v6
	v_fma_f32 v20, v39, v56, -v30
	v_fmac_f32_e32 v19, v40, v56
	v_fma_f32 v4, v16, v71, -v4
	v_fma_f32 v16, v18, v51, -v25
	;; [unrolled: 1-line block ×3, first 2 shown]
	v_fmac_f32_e32 v17, v53, v55
	v_fmac_f32_e32 v15, v38, v51
	v_fma_f32 v14, v42, v48, -v14
	v_fmac_f32_e32 v13, v45, v48
	v_mad_co_u64_u32 v[104:105], null, s4, v104, v[0:1]
	s_clause 0x4
	global_store_b64 v[36:37], v[23:24], off
	global_store_b64 v[66:67], v[19:20], off
	;; [unrolled: 1-line block ×5, first 2 shown]
	v_add_nc_u32_e32 v17, 0x78, v54
	v_mad_co_u64_u32 v[15:16], null, s4, v54, v[0:1]
	v_mov_b32_e32 v16, v2
	v_sub_nc_u32_e32 v1, v63, v1
	v_mov_b32_e32 v105, v2
	v_fma_f32 v46, v74, v76, -v46
	v_mul_f32_e32 v11, v34, v47
	v_mul_f32_e32 v9, v32, v44
	v_mad_co_u64_u32 v[17:18], null, s4, v17, v[0:1]
	v_add_nc_u32_e32 v1, v1, v63
	v_lshlrev_b64_e32 v[13:14], 3, v[104:105]
	v_mov_b32_e32 v18, v2
	v_lshlrev_b64_e32 v[15:16], 3, v[15:16]
	v_mul_f32_e32 v7, v28, v41
	v_add_nc_u32_e32 v21, 0x78, v1
	v_mad_co_u64_u32 v[19:20], null, s4, v1, v[0:1]
	v_mov_b32_e32 v20, v2
	v_add_co_u32 v13, vcc_lo, s2, v13
	s_delay_alu instid0(VALU_DEP_4)
	v_mad_co_u64_u32 v[0:1], null, s4, v21, v[0:1]
	v_lshlrev_b64_e32 v[17:18], 3, v[17:18]
	v_mov_b32_e32 v1, v2
	s_wait_alu 0xfffd
	v_add_co_ci_u32_e32 v14, vcc_lo, s3, v14, vcc_lo
	v_add_co_u32 v15, vcc_lo, s2, v15
	v_lshlrev_b64_e32 v[19:20], 3, v[19:20]
	s_wait_alu 0xfffd
	v_add_co_ci_u32_e32 v16, vcc_lo, s3, v16, vcc_lo
	v_add_co_u32 v17, vcc_lo, s2, v17
	v_lshlrev_b64_e32 v[0:1], 3, v[0:1]
	s_wait_alu 0xfffd
	v_add_co_ci_u32_e32 v18, vcc_lo, s3, v18, vcc_lo
	v_add_co_u32 v19, vcc_lo, s2, v19
	v_fma_f32 v12, v34, v46, -v12
	v_fmac_f32_e32 v11, v35, v46
	v_fma_f32 v10, v32, v43, -v10
	v_fmac_f32_e32 v9, v33, v43
	s_wait_alu 0xfffd
	v_add_co_ci_u32_e32 v20, vcc_lo, s3, v20, vcc_lo
	v_fma_f32 v8, v28, v50, -v8
	v_fmac_f32_e32 v7, v29, v50
	v_add_co_u32 v0, vcc_lo, s2, v0
	v_fmac_f32_e32 v5, v27, v72
	s_wait_alu 0xfffd
	v_add_co_ci_u32_e32 v1, vcc_lo, s3, v1, vcc_lo
	s_clause 0x4
	global_store_b64 v[13:14], v[11:12], off
	global_store_b64 v[15:16], v[9:10], off
	;; [unrolled: 1-line block ×5, first 2 shown]
.LBB0_36:
	s_nop 0
	s_sendmsg sendmsg(MSG_DEALLOC_VGPRS)
	s_endpgm
	.section	.rodata,"a",@progbits
	.p2align	6, 0x0
	.amdhsa_kernel fft_rtc_back_len240_factors_2_2_10_3_2_wgs_180_tpt_20_dim3_sp_ip_CI_sbcc_twdbase8_2step_dirReg_intrinsicReadWrite
		.amdhsa_group_segment_fixed_size 0
		.amdhsa_private_segment_fixed_size 0
		.amdhsa_kernarg_size 88
		.amdhsa_user_sgpr_count 2
		.amdhsa_user_sgpr_dispatch_ptr 0
		.amdhsa_user_sgpr_queue_ptr 0
		.amdhsa_user_sgpr_kernarg_segment_ptr 1
		.amdhsa_user_sgpr_dispatch_id 0
		.amdhsa_user_sgpr_private_segment_size 0
		.amdhsa_wavefront_size32 1
		.amdhsa_uses_dynamic_stack 0
		.amdhsa_enable_private_segment 0
		.amdhsa_system_sgpr_workgroup_id_x 1
		.amdhsa_system_sgpr_workgroup_id_y 0
		.amdhsa_system_sgpr_workgroup_id_z 0
		.amdhsa_system_sgpr_workgroup_info 0
		.amdhsa_system_vgpr_workitem_id 0
		.amdhsa_next_free_vgpr 108
		.amdhsa_next_free_sgpr 26
		.amdhsa_reserve_vcc 1
		.amdhsa_float_round_mode_32 0
		.amdhsa_float_round_mode_16_64 0
		.amdhsa_float_denorm_mode_32 3
		.amdhsa_float_denorm_mode_16_64 3
		.amdhsa_fp16_overflow 0
		.amdhsa_workgroup_processor_mode 1
		.amdhsa_memory_ordered 1
		.amdhsa_forward_progress 0
		.amdhsa_round_robin_scheduling 0
		.amdhsa_exception_fp_ieee_invalid_op 0
		.amdhsa_exception_fp_denorm_src 0
		.amdhsa_exception_fp_ieee_div_zero 0
		.amdhsa_exception_fp_ieee_overflow 0
		.amdhsa_exception_fp_ieee_underflow 0
		.amdhsa_exception_fp_ieee_inexact 0
		.amdhsa_exception_int_div_zero 0
	.end_amdhsa_kernel
	.text
.Lfunc_end0:
	.size	fft_rtc_back_len240_factors_2_2_10_3_2_wgs_180_tpt_20_dim3_sp_ip_CI_sbcc_twdbase8_2step_dirReg_intrinsicReadWrite, .Lfunc_end0-fft_rtc_back_len240_factors_2_2_10_3_2_wgs_180_tpt_20_dim3_sp_ip_CI_sbcc_twdbase8_2step_dirReg_intrinsicReadWrite
                                        ; -- End function
	.section	.AMDGPU.csdata,"",@progbits
; Kernel info:
; codeLenInByte = 9712
; NumSgprs: 28
; NumVgprs: 108
; ScratchSize: 0
; MemoryBound: 0
; FloatMode: 240
; IeeeMode: 1
; LDSByteSize: 0 bytes/workgroup (compile time only)
; SGPRBlocks: 3
; VGPRBlocks: 13
; NumSGPRsForWavesPerEU: 28
; NumVGPRsForWavesPerEU: 108
; Occupancy: 12
; WaveLimiterHint : 1
; COMPUTE_PGM_RSRC2:SCRATCH_EN: 0
; COMPUTE_PGM_RSRC2:USER_SGPR: 2
; COMPUTE_PGM_RSRC2:TRAP_HANDLER: 0
; COMPUTE_PGM_RSRC2:TGID_X_EN: 1
; COMPUTE_PGM_RSRC2:TGID_Y_EN: 0
; COMPUTE_PGM_RSRC2:TGID_Z_EN: 0
; COMPUTE_PGM_RSRC2:TIDIG_COMP_CNT: 0
	.text
	.p2alignl 7, 3214868480
	.fill 96, 4, 3214868480
	.type	__hip_cuid_3e2b0340840737e9,@object ; @__hip_cuid_3e2b0340840737e9
	.section	.bss,"aw",@nobits
	.globl	__hip_cuid_3e2b0340840737e9
__hip_cuid_3e2b0340840737e9:
	.byte	0                               ; 0x0
	.size	__hip_cuid_3e2b0340840737e9, 1

	.ident	"AMD clang version 19.0.0git (https://github.com/RadeonOpenCompute/llvm-project roc-6.4.0 25133 c7fe45cf4b819c5991fe208aaa96edf142730f1d)"
	.section	".note.GNU-stack","",@progbits
	.addrsig
	.addrsig_sym __hip_cuid_3e2b0340840737e9
	.amdgpu_metadata
---
amdhsa.kernels:
  - .args:
      - .actual_access:  read_only
        .address_space:  global
        .offset:         0
        .size:           8
        .value_kind:     global_buffer
      - .address_space:  global
        .offset:         8
        .size:           8
        .value_kind:     global_buffer
      - .actual_access:  read_only
        .address_space:  global
        .offset:         16
        .size:           8
        .value_kind:     global_buffer
      - .actual_access:  read_only
        .address_space:  global
        .offset:         24
        .size:           8
        .value_kind:     global_buffer
      - .offset:         32
        .size:           8
        .value_kind:     by_value
      - .actual_access:  read_only
        .address_space:  global
        .offset:         40
        .size:           8
        .value_kind:     global_buffer
      - .actual_access:  read_only
        .address_space:  global
        .offset:         48
        .size:           8
        .value_kind:     global_buffer
      - .offset:         56
        .size:           4
        .value_kind:     by_value
      - .actual_access:  read_only
        .address_space:  global
        .offset:         64
        .size:           8
        .value_kind:     global_buffer
      - .actual_access:  read_only
        .address_space:  global
        .offset:         72
        .size:           8
        .value_kind:     global_buffer
      - .address_space:  global
        .offset:         80
        .size:           8
        .value_kind:     global_buffer
    .group_segment_fixed_size: 0
    .kernarg_segment_align: 8
    .kernarg_segment_size: 88
    .language:       OpenCL C
    .language_version:
      - 2
      - 0
    .max_flat_workgroup_size: 180
    .name:           fft_rtc_back_len240_factors_2_2_10_3_2_wgs_180_tpt_20_dim3_sp_ip_CI_sbcc_twdbase8_2step_dirReg_intrinsicReadWrite
    .private_segment_fixed_size: 0
    .sgpr_count:     28
    .sgpr_spill_count: 0
    .symbol:         fft_rtc_back_len240_factors_2_2_10_3_2_wgs_180_tpt_20_dim3_sp_ip_CI_sbcc_twdbase8_2step_dirReg_intrinsicReadWrite.kd
    .uniform_work_group_size: 1
    .uses_dynamic_stack: false
    .vgpr_count:     108
    .vgpr_spill_count: 0
    .wavefront_size: 32
    .workgroup_processor_mode: 1
amdhsa.target:   amdgcn-amd-amdhsa--gfx1201
amdhsa.version:
  - 1
  - 2
...

	.end_amdgpu_metadata
